;; amdgpu-corpus repo=LLNL/RAJAPerf kind=compiled arch=gfx906 opt=O3
	.amdgcn_target "amdgcn-amd-amdhsa--gfx906"
	.amdhsa_code_object_version 6
	.section	.text._ZN8rajaperf4apps13ltimes_noviewILm32ELm4ELm2EEEvPdS2_S2_llll,"axG",@progbits,_ZN8rajaperf4apps13ltimes_noviewILm32ELm4ELm2EEEvPdS2_S2_llll,comdat
	.protected	_ZN8rajaperf4apps13ltimes_noviewILm32ELm4ELm2EEEvPdS2_S2_llll ; -- Begin function _ZN8rajaperf4apps13ltimes_noviewILm32ELm4ELm2EEEvPdS2_S2_llll
	.globl	_ZN8rajaperf4apps13ltimes_noviewILm32ELm4ELm2EEEvPdS2_S2_llll
	.p2align	8
	.type	_ZN8rajaperf4apps13ltimes_noviewILm32ELm4ELm2EEEvPdS2_S2_llll,@function
_ZN8rajaperf4apps13ltimes_noviewILm32ELm4ELm2EEEvPdS2_S2_llll: ; @_ZN8rajaperf4apps13ltimes_noviewILm32ELm4ELm2EEEvPdS2_S2_llll
; %bb.0:
	s_mov_b32 s0, s7
	s_mov_b32 s7, 0
	s_load_dwordx8 s[12:19], s[4:5], 0x0
	s_load_dwordx8 s[20:27], s[4:5], 0x20
	s_lshl_b64 s[2:3], s[6:7], 5
	v_mov_b32_e32 v4, s3
	v_add_co_u32_e32 v3, vcc, s2, v0
	s_mov_b32 s1, s7
	v_addc_co_u32_e32 v4, vcc, 0, v4, vcc
	s_lshl_b64 s[0:1], s[0:1], 2
	v_mov_b32_e32 v5, s1
	v_add_co_u32_e32 v0, vcc, s0, v1
	s_mov_b32 s9, s7
	v_addc_co_u32_e32 v1, vcc, 0, v5, vcc
	s_lshl_b64 s[2:3], s[8:9], 1
	v_mov_b32_e32 v6, s3
	s_waitcnt lgkmcnt(0)
	v_cmp_gt_i64_e32 vcc, s[20:21], v[3:4]
	v_cmp_gt_i64_e64 s[0:1], s[22:23], v[0:1]
	v_add_co_u32_e64 v5, s[2:3], s2, v2
	v_addc_co_u32_e64 v6, s[2:3], 0, v6, s[2:3]
	s_and_b64 s[0:1], vcc, s[0:1]
	v_cmp_gt_i64_e32 vcc, s[24:25], v[5:6]
	v_cmp_gt_i64_e64 s[2:3], s[18:19], 0
	s_and_b64 s[0:1], s[0:1], vcc
	s_and_b64 s[0:1], s[0:1], s[2:3]
	s_and_saveexec_b64 s[2:3], s[0:1]
	s_cbranch_execz .LBB0_3
; %bb.1:
	s_mul_i32 s0, s22, s21
	s_mul_hi_u32 s1, s22, s20
	s_add_i32 s0, s1, s0
	s_mul_i32 s1, s23, s20
	s_add_i32 s2, s0, s1
	s_mul_i32 s3, s22, s20
	v_mul_lo_u32 v2, s21, v0
	v_mul_lo_u32 v11, s20, v1
	v_mad_u64_u32 v[7:8], s[0:1], s20, v0, 0
	v_mul_lo_u32 v12, s2, v5
	v_mul_lo_u32 v13, s3, v6
	v_mad_u64_u32 v[9:10], s[0:1], s3, v5, 0
	v_add3_u32 v8, v8, v11, v2
	v_mov_b32_e32 v2, s13
	v_add3_u32 v10, v10, v13, v12
	v_lshlrev_b64 v[11:12], 3, v[3:4]
	v_lshlrev_b64 v[7:8], 3, v[7:8]
	v_add_co_u32_e32 v11, vcc, s12, v11
	v_addc_co_u32_e32 v2, vcc, v2, v12, vcc
	v_add_co_u32_e32 v11, vcc, v11, v7
	v_addc_co_u32_e32 v2, vcc, v2, v8, vcc
	v_lshlrev_b64 v[7:8], 3, v[9:10]
	s_mul_i32 s0, s22, s19
	v_add_co_u32_e32 v7, vcc, v11, v7
	v_addc_co_u32_e32 v8, vcc, v2, v8, vcc
	global_load_dwordx2 v[9:10], v[7:8], off
	s_mul_hi_u32 s1, s22, s18
	s_add_i32 s2, s1, s0
	v_mul_lo_u32 v11, s19, v3
	v_mul_lo_u32 v4, s18, v4
	v_mad_u64_u32 v[2:3], s[0:1], s18, v3, 0
	s_mul_i32 s0, s23, s18
	s_add_i32 s2, s2, s0
	v_add3_u32 v3, v3, v4, v11
	v_mul_lo_u32 v14, s19, v0
	v_mul_lo_u32 v15, s18, v1
	v_mad_u64_u32 v[11:12], s[0:1], s18, v0, 0
	s_mul_i32 s3, s22, s18
	v_lshlrev_b64 v[2:3], 3, v[2:3]
	v_mul_lo_u32 v16, s2, v5
	v_mul_lo_u32 v6, s3, v6
	v_mad_u64_u32 v[4:5], s[0:1], s3, v5, 0
	v_mov_b32_e32 v13, s15
	v_add_co_u32_e32 v0, vcc, s14, v2
	v_add3_u32 v12, v12, v15, v14
	v_addc_co_u32_e32 v1, vcc, v13, v3, vcc
	v_lshlrev_b64 v[2:3], 3, v[11:12]
	v_add3_u32 v5, v5, v6, v16
	v_mov_b32_e32 v6, s17
	v_add_co_u32_e32 v11, vcc, s16, v2
	v_addc_co_u32_e32 v6, vcc, v6, v3, vcc
	v_lshlrev_b64 v[2:3], 3, v[4:5]
	v_add_co_u32_e32 v2, vcc, v11, v2
	v_addc_co_u32_e32 v3, vcc, v6, v3, vcc
.LBB0_2:                                ; =>This Inner Loop Header: Depth=1
	global_load_dwordx2 v[4:5], v[0:1], off
	global_load_dwordx2 v[11:12], v[2:3], off
	v_add_co_u32_e32 v2, vcc, 8, v2
	v_addc_co_u32_e32 v3, vcc, 0, v3, vcc
	s_add_u32 s18, s18, -1
	v_add_co_u32_e32 v0, vcc, 8, v0
	s_addc_u32 s19, s19, -1
	v_addc_co_u32_e32 v1, vcc, 0, v1, vcc
	s_cmp_lg_u64 s[18:19], 0
	s_waitcnt vmcnt(0)
	v_fma_f64 v[9:10], v[4:5], v[11:12], v[9:10]
	global_store_dwordx2 v[7:8], v[9:10], off
	s_cbranch_scc1 .LBB0_2
.LBB0_3:
	s_endpgm
	.section	.rodata,"a",@progbits
	.p2align	6, 0x0
	.amdhsa_kernel _ZN8rajaperf4apps13ltimes_noviewILm32ELm4ELm2EEEvPdS2_S2_llll
		.amdhsa_group_segment_fixed_size 0
		.amdhsa_private_segment_fixed_size 0
		.amdhsa_kernarg_size 56
		.amdhsa_user_sgpr_count 6
		.amdhsa_user_sgpr_private_segment_buffer 1
		.amdhsa_user_sgpr_dispatch_ptr 0
		.amdhsa_user_sgpr_queue_ptr 0
		.amdhsa_user_sgpr_kernarg_segment_ptr 1
		.amdhsa_user_sgpr_dispatch_id 0
		.amdhsa_user_sgpr_flat_scratch_init 0
		.amdhsa_user_sgpr_private_segment_size 0
		.amdhsa_uses_dynamic_stack 0
		.amdhsa_system_sgpr_private_segment_wavefront_offset 0
		.amdhsa_system_sgpr_workgroup_id_x 1
		.amdhsa_system_sgpr_workgroup_id_y 1
		.amdhsa_system_sgpr_workgroup_id_z 1
		.amdhsa_system_sgpr_workgroup_info 0
		.amdhsa_system_vgpr_workitem_id 2
		.amdhsa_next_free_vgpr 17
		.amdhsa_next_free_sgpr 28
		.amdhsa_reserve_vcc 1
		.amdhsa_reserve_flat_scratch 0
		.amdhsa_float_round_mode_32 0
		.amdhsa_float_round_mode_16_64 0
		.amdhsa_float_denorm_mode_32 3
		.amdhsa_float_denorm_mode_16_64 3
		.amdhsa_dx10_clamp 1
		.amdhsa_ieee_mode 1
		.amdhsa_fp16_overflow 0
		.amdhsa_exception_fp_ieee_invalid_op 0
		.amdhsa_exception_fp_denorm_src 0
		.amdhsa_exception_fp_ieee_div_zero 0
		.amdhsa_exception_fp_ieee_overflow 0
		.amdhsa_exception_fp_ieee_underflow 0
		.amdhsa_exception_fp_ieee_inexact 0
		.amdhsa_exception_int_div_zero 0
	.end_amdhsa_kernel
	.section	.text._ZN8rajaperf4apps13ltimes_noviewILm32ELm4ELm2EEEvPdS2_S2_llll,"axG",@progbits,_ZN8rajaperf4apps13ltimes_noviewILm32ELm4ELm2EEEvPdS2_S2_llll,comdat
.Lfunc_end0:
	.size	_ZN8rajaperf4apps13ltimes_noviewILm32ELm4ELm2EEEvPdS2_S2_llll, .Lfunc_end0-_ZN8rajaperf4apps13ltimes_noviewILm32ELm4ELm2EEEvPdS2_S2_llll
                                        ; -- End function
	.set _ZN8rajaperf4apps13ltimes_noviewILm32ELm4ELm2EEEvPdS2_S2_llll.num_vgpr, 17
	.set _ZN8rajaperf4apps13ltimes_noviewILm32ELm4ELm2EEEvPdS2_S2_llll.num_agpr, 0
	.set _ZN8rajaperf4apps13ltimes_noviewILm32ELm4ELm2EEEvPdS2_S2_llll.numbered_sgpr, 28
	.set _ZN8rajaperf4apps13ltimes_noviewILm32ELm4ELm2EEEvPdS2_S2_llll.num_named_barrier, 0
	.set _ZN8rajaperf4apps13ltimes_noviewILm32ELm4ELm2EEEvPdS2_S2_llll.private_seg_size, 0
	.set _ZN8rajaperf4apps13ltimes_noviewILm32ELm4ELm2EEEvPdS2_S2_llll.uses_vcc, 1
	.set _ZN8rajaperf4apps13ltimes_noviewILm32ELm4ELm2EEEvPdS2_S2_llll.uses_flat_scratch, 0
	.set _ZN8rajaperf4apps13ltimes_noviewILm32ELm4ELm2EEEvPdS2_S2_llll.has_dyn_sized_stack, 0
	.set _ZN8rajaperf4apps13ltimes_noviewILm32ELm4ELm2EEEvPdS2_S2_llll.has_recursion, 0
	.set _ZN8rajaperf4apps13ltimes_noviewILm32ELm4ELm2EEEvPdS2_S2_llll.has_indirect_call, 0
	.section	.AMDGPU.csdata,"",@progbits
; Kernel info:
; codeLenInByte = 532
; TotalNumSgprs: 32
; NumVgprs: 17
; ScratchSize: 0
; MemoryBound: 0
; FloatMode: 240
; IeeeMode: 1
; LDSByteSize: 0 bytes/workgroup (compile time only)
; SGPRBlocks: 3
; VGPRBlocks: 4
; NumSGPRsForWavesPerEU: 32
; NumVGPRsForWavesPerEU: 17
; Occupancy: 10
; WaveLimiterHint : 0
; COMPUTE_PGM_RSRC2:SCRATCH_EN: 0
; COMPUTE_PGM_RSRC2:USER_SGPR: 6
; COMPUTE_PGM_RSRC2:TRAP_HANDLER: 0
; COMPUTE_PGM_RSRC2:TGID_X_EN: 1
; COMPUTE_PGM_RSRC2:TGID_Y_EN: 1
; COMPUTE_PGM_RSRC2:TGID_Z_EN: 1
; COMPUTE_PGM_RSRC2:TIDIG_COMP_CNT: 2
	.section	.text._ZN8rajaperf4apps17ltimes_noview_lamILm32ELm4ELm2EZNS0_13LTIMES_NOVIEW17runHipVariantImplILm256ELm0EEEvNS_9VariantIDEEUllllE_EEvlllT2_,"axG",@progbits,_ZN8rajaperf4apps17ltimes_noview_lamILm32ELm4ELm2EZNS0_13LTIMES_NOVIEW17runHipVariantImplILm256ELm0EEEvNS_9VariantIDEEUllllE_EEvlllT2_,comdat
	.protected	_ZN8rajaperf4apps17ltimes_noview_lamILm32ELm4ELm2EZNS0_13LTIMES_NOVIEW17runHipVariantImplILm256ELm0EEEvNS_9VariantIDEEUllllE_EEvlllT2_ ; -- Begin function _ZN8rajaperf4apps17ltimes_noview_lamILm32ELm4ELm2EZNS0_13LTIMES_NOVIEW17runHipVariantImplILm256ELm0EEEvNS_9VariantIDEEUllllE_EEvlllT2_
	.globl	_ZN8rajaperf4apps17ltimes_noview_lamILm32ELm4ELm2EZNS0_13LTIMES_NOVIEW17runHipVariantImplILm256ELm0EEEvNS_9VariantIDEEUllllE_EEvlllT2_
	.p2align	8
	.type	_ZN8rajaperf4apps17ltimes_noview_lamILm32ELm4ELm2EZNS0_13LTIMES_NOVIEW17runHipVariantImplILm256ELm0EEEvNS_9VariantIDEEUllllE_EEvlllT2_,@function
_ZN8rajaperf4apps17ltimes_noview_lamILm32ELm4ELm2EZNS0_13LTIMES_NOVIEW17runHipVariantImplILm256ELm0EEEvNS_9VariantIDEEUllllE_EEvlllT2_: ; @_ZN8rajaperf4apps17ltimes_noview_lamILm32ELm4ELm2EZNS0_13LTIMES_NOVIEW17runHipVariantImplILm256ELm0EEEvNS_9VariantIDEEUllllE_EEvlllT2_
; %bb.0:
	s_mov_b32 s0, s7
	s_mov_b32 s7, 0
	s_load_dwordx8 s[12:19], s[4:5], 0x0
	s_lshl_b64 s[2:3], s[6:7], 5
	v_mov_b32_e32 v4, s3
	v_add_co_u32_e32 v3, vcc, s2, v0
	s_mov_b32 s1, s7
	v_addc_co_u32_e32 v4, vcc, 0, v4, vcc
	s_lshl_b64 s[0:1], s[0:1], 2
	v_mov_b32_e32 v5, s1
	v_add_co_u32_e32 v0, vcc, s0, v1
	s_mov_b32 s9, s7
	v_addc_co_u32_e32 v1, vcc, 0, v5, vcc
	s_lshl_b64 s[2:3], s[8:9], 1
	v_mov_b32_e32 v6, s3
	s_waitcnt lgkmcnt(0)
	v_cmp_gt_i64_e32 vcc, s[12:13], v[3:4]
	v_cmp_gt_i64_e64 s[0:1], s[14:15], v[0:1]
	v_add_co_u32_e64 v5, s[2:3], s2, v2
	v_addc_co_u32_e64 v6, s[2:3], 0, v6, s[2:3]
	s_and_b64 s[0:1], vcc, s[0:1]
	v_cmp_gt_i64_e32 vcc, s[16:17], v[5:6]
	v_cmp_gt_i64_e64 s[2:3], s[18:19], 0
	s_and_b64 s[0:1], s[0:1], vcc
	s_and_b64 s[0:1], s[0:1], s[2:3]
	s_and_saveexec_b64 s[2:3], s[0:1]
	s_cbranch_execz .LBB1_3
; %bb.1:
	s_load_dwordx8 s[8:15], s[4:5], 0x20
	v_mul_lo_u32 v15, s19, v5
	v_mul_lo_u32 v14, s19, v0
	;; [unrolled: 1-line block ×3, first 2 shown]
	s_waitcnt lgkmcnt(0)
	v_mul_lo_u32 v11, s13, v5
	v_mul_lo_u32 v12, s12, v6
	v_mad_u64_u32 v[7:8], s[0:1], s12, v5, 0
	v_mul_lo_u32 v2, s11, v0
	v_mul_lo_u32 v13, s10, v1
	v_add3_u32 v8, v8, v12, v11
	v_mul_lo_u32 v11, v8, s10
	v_mul_lo_u32 v12, v7, s11
	v_mad_u64_u32 v[7:8], s[0:1], v7, s10, 0
	v_mad_u64_u32 v[9:10], s[0:1], s10, v0, 0
	v_add3_u32 v8, v8, v12, v11
	v_lshlrev_b64 v[11:12], 3, v[3:4]
	v_add3_u32 v10, v10, v13, v2
	v_mov_b32_e32 v2, s9
	v_add_co_u32_e32 v11, vcc, s8, v11
	v_lshlrev_b64 v[9:10], 3, v[9:10]
	v_addc_co_u32_e32 v2, vcc, v2, v12, vcc
	v_add_co_u32_e32 v9, vcc, v11, v9
	v_lshlrev_b64 v[7:8], 3, v[7:8]
	v_addc_co_u32_e32 v2, vcc, v2, v10, vcc
	v_add_co_u32_e32 v7, vcc, v9, v7
	v_addc_co_u32_e32 v8, vcc, v2, v8, vcc
	global_load_dwordx2 v[9:10], v[7:8], off
	v_mul_lo_u32 v11, s19, v3
	v_mul_lo_u32 v4, s18, v4
	v_mad_u64_u32 v[2:3], s[0:1], s18, v3, 0
	v_mul_lo_u32 v6, s18, v6
	s_load_dwordx2 s[0:1], s[4:5], 0x40
	v_add3_u32 v3, v3, v4, v11
	v_mad_u64_u32 v[4:5], s[2:3], s18, v5, 0
	v_mad_u64_u32 v[11:12], s[2:3], s18, v0, 0
	v_lshlrev_b64 v[2:3], 3, v[2:3]
	v_add3_u32 v0, v5, v6, v15
	v_mul_lo_u32 v6, v0, s12
	v_mul_lo_u32 v15, v4, s13
	v_mad_u64_u32 v[4:5], s[2:3], v4, s12, 0
	v_mov_b32_e32 v13, s15
	v_add_co_u32_e32 v0, vcc, s14, v2
	v_add3_u32 v12, v12, v16, v14
	v_addc_co_u32_e32 v1, vcc, v13, v3, vcc
	v_lshlrev_b64 v[2:3], 3, v[11:12]
	v_add3_u32 v5, v5, v15, v6
	s_waitcnt lgkmcnt(0)
	v_mov_b32_e32 v6, s1
	v_add_co_u32_e32 v11, vcc, s0, v2
	v_addc_co_u32_e32 v6, vcc, v6, v3, vcc
	v_lshlrev_b64 v[2:3], 3, v[4:5]
	v_add_co_u32_e32 v2, vcc, v11, v2
	v_addc_co_u32_e32 v3, vcc, v6, v3, vcc
.LBB1_2:                                ; =>This Inner Loop Header: Depth=1
	global_load_dwordx2 v[4:5], v[0:1], off
	global_load_dwordx2 v[11:12], v[2:3], off
	v_add_co_u32_e32 v0, vcc, 8, v0
	v_addc_co_u32_e32 v1, vcc, 0, v1, vcc
	s_add_u32 s18, s18, -1
	v_add_co_u32_e32 v2, vcc, 8, v2
	s_addc_u32 s19, s19, -1
	v_addc_co_u32_e32 v3, vcc, 0, v3, vcc
	s_cmp_lg_u64 s[18:19], 0
	s_waitcnt vmcnt(0)
	v_fma_f64 v[9:10], v[4:5], v[11:12], v[9:10]
	global_store_dwordx2 v[7:8], v[9:10], off
	s_cbranch_scc1 .LBB1_2
.LBB1_3:
	s_endpgm
	.section	.rodata,"a",@progbits
	.p2align	6, 0x0
	.amdhsa_kernel _ZN8rajaperf4apps17ltimes_noview_lamILm32ELm4ELm2EZNS0_13LTIMES_NOVIEW17runHipVariantImplILm256ELm0EEEvNS_9VariantIDEEUllllE_EEvlllT2_
		.amdhsa_group_segment_fixed_size 0
		.amdhsa_private_segment_fixed_size 0
		.amdhsa_kernarg_size 72
		.amdhsa_user_sgpr_count 6
		.amdhsa_user_sgpr_private_segment_buffer 1
		.amdhsa_user_sgpr_dispatch_ptr 0
		.amdhsa_user_sgpr_queue_ptr 0
		.amdhsa_user_sgpr_kernarg_segment_ptr 1
		.amdhsa_user_sgpr_dispatch_id 0
		.amdhsa_user_sgpr_flat_scratch_init 0
		.amdhsa_user_sgpr_private_segment_size 0
		.amdhsa_uses_dynamic_stack 0
		.amdhsa_system_sgpr_private_segment_wavefront_offset 0
		.amdhsa_system_sgpr_workgroup_id_x 1
		.amdhsa_system_sgpr_workgroup_id_y 1
		.amdhsa_system_sgpr_workgroup_id_z 1
		.amdhsa_system_sgpr_workgroup_info 0
		.amdhsa_system_vgpr_workitem_id 2
		.amdhsa_next_free_vgpr 17
		.amdhsa_next_free_sgpr 20
		.amdhsa_reserve_vcc 1
		.amdhsa_reserve_flat_scratch 0
		.amdhsa_float_round_mode_32 0
		.amdhsa_float_round_mode_16_64 0
		.amdhsa_float_denorm_mode_32 3
		.amdhsa_float_denorm_mode_16_64 3
		.amdhsa_dx10_clamp 1
		.amdhsa_ieee_mode 1
		.amdhsa_fp16_overflow 0
		.amdhsa_exception_fp_ieee_invalid_op 0
		.amdhsa_exception_fp_denorm_src 0
		.amdhsa_exception_fp_ieee_div_zero 0
		.amdhsa_exception_fp_ieee_overflow 0
		.amdhsa_exception_fp_ieee_underflow 0
		.amdhsa_exception_fp_ieee_inexact 0
		.amdhsa_exception_int_div_zero 0
	.end_amdhsa_kernel
	.section	.text._ZN8rajaperf4apps17ltimes_noview_lamILm32ELm4ELm2EZNS0_13LTIMES_NOVIEW17runHipVariantImplILm256ELm0EEEvNS_9VariantIDEEUllllE_EEvlllT2_,"axG",@progbits,_ZN8rajaperf4apps17ltimes_noview_lamILm32ELm4ELm2EZNS0_13LTIMES_NOVIEW17runHipVariantImplILm256ELm0EEEvNS_9VariantIDEEUllllE_EEvlllT2_,comdat
.Lfunc_end1:
	.size	_ZN8rajaperf4apps17ltimes_noview_lamILm32ELm4ELm2EZNS0_13LTIMES_NOVIEW17runHipVariantImplILm256ELm0EEEvNS_9VariantIDEEUllllE_EEvlllT2_, .Lfunc_end1-_ZN8rajaperf4apps17ltimes_noview_lamILm32ELm4ELm2EZNS0_13LTIMES_NOVIEW17runHipVariantImplILm256ELm0EEEvNS_9VariantIDEEUllllE_EEvlllT2_
                                        ; -- End function
	.set _ZN8rajaperf4apps17ltimes_noview_lamILm32ELm4ELm2EZNS0_13LTIMES_NOVIEW17runHipVariantImplILm256ELm0EEEvNS_9VariantIDEEUllllE_EEvlllT2_.num_vgpr, 17
	.set _ZN8rajaperf4apps17ltimes_noview_lamILm32ELm4ELm2EZNS0_13LTIMES_NOVIEW17runHipVariantImplILm256ELm0EEEvNS_9VariantIDEEUllllE_EEvlllT2_.num_agpr, 0
	.set _ZN8rajaperf4apps17ltimes_noview_lamILm32ELm4ELm2EZNS0_13LTIMES_NOVIEW17runHipVariantImplILm256ELm0EEEvNS_9VariantIDEEUllllE_EEvlllT2_.numbered_sgpr, 20
	.set _ZN8rajaperf4apps17ltimes_noview_lamILm32ELm4ELm2EZNS0_13LTIMES_NOVIEW17runHipVariantImplILm256ELm0EEEvNS_9VariantIDEEUllllE_EEvlllT2_.num_named_barrier, 0
	.set _ZN8rajaperf4apps17ltimes_noview_lamILm32ELm4ELm2EZNS0_13LTIMES_NOVIEW17runHipVariantImplILm256ELm0EEEvNS_9VariantIDEEUllllE_EEvlllT2_.private_seg_size, 0
	.set _ZN8rajaperf4apps17ltimes_noview_lamILm32ELm4ELm2EZNS0_13LTIMES_NOVIEW17runHipVariantImplILm256ELm0EEEvNS_9VariantIDEEUllllE_EEvlllT2_.uses_vcc, 1
	.set _ZN8rajaperf4apps17ltimes_noview_lamILm32ELm4ELm2EZNS0_13LTIMES_NOVIEW17runHipVariantImplILm256ELm0EEEvNS_9VariantIDEEUllllE_EEvlllT2_.uses_flat_scratch, 0
	.set _ZN8rajaperf4apps17ltimes_noview_lamILm32ELm4ELm2EZNS0_13LTIMES_NOVIEW17runHipVariantImplILm256ELm0EEEvNS_9VariantIDEEUllllE_EEvlllT2_.has_dyn_sized_stack, 0
	.set _ZN8rajaperf4apps17ltimes_noview_lamILm32ELm4ELm2EZNS0_13LTIMES_NOVIEW17runHipVariantImplILm256ELm0EEEvNS_9VariantIDEEUllllE_EEvlllT2_.has_recursion, 0
	.set _ZN8rajaperf4apps17ltimes_noview_lamILm32ELm4ELm2EZNS0_13LTIMES_NOVIEW17runHipVariantImplILm256ELm0EEEvNS_9VariantIDEEUllllE_EEvlllT2_.has_indirect_call, 0
	.section	.AMDGPU.csdata,"",@progbits
; Kernel info:
; codeLenInByte = 564
; TotalNumSgprs: 24
; NumVgprs: 17
; ScratchSize: 0
; MemoryBound: 0
; FloatMode: 240
; IeeeMode: 1
; LDSByteSize: 0 bytes/workgroup (compile time only)
; SGPRBlocks: 2
; VGPRBlocks: 4
; NumSGPRsForWavesPerEU: 24
; NumVGPRsForWavesPerEU: 17
; Occupancy: 10
; WaveLimiterHint : 0
; COMPUTE_PGM_RSRC2:SCRATCH_EN: 0
; COMPUTE_PGM_RSRC2:USER_SGPR: 6
; COMPUTE_PGM_RSRC2:TRAP_HANDLER: 0
; COMPUTE_PGM_RSRC2:TGID_X_EN: 1
; COMPUTE_PGM_RSRC2:TGID_Y_EN: 1
; COMPUTE_PGM_RSRC2:TGID_Z_EN: 1
; COMPUTE_PGM_RSRC2:TIDIG_COMP_CNT: 2
	.section	.text._ZN4RAJA8internal22HipKernelLauncherFixedILi256ENS0_8LoopDataIN4camp5tupleIJNS_4SpanINS_9Iterators16numeric_iteratorIllPlEElEESA_SA_SA_EEENS4_IJEEENS3_9resources2v13HipEJZN8rajaperf4apps13LTIMES_NOVIEW17runHipVariantImplILm256ELm0EEEvNSG_9VariantIDEEUlllllE_EEENS0_24HipStatementListExecutorISM_NS3_4listIJNS_9statement3ForILl1ENS_6policy3hip11hip_indexerINS_17iteration_mapping6DirectELNS_23kernel_sync_requirementE0EJNS_3hip11IndexGlobalILNS_9named_dimE2ELi2ELi0EEEEEEJNSQ_ILl2ENST_ISV_LSW_0EJNSY_ILSZ_1ELi4ELi0EEEEEEJNSQ_ILl3ENST_ISV_LSW_0EJNSY_ILSZ_0ELi32ELi0EEEEEEJNSQ_ILl0ENSR_10sequential8seq_execEJNSP_6LambdaILl0EJEEEEEEEEEEEEEEEEEENS0_9LoopTypesINSO_IJvvvvEEES1G_EEEEEEvT0_,"axG",@progbits,_ZN4RAJA8internal22HipKernelLauncherFixedILi256ENS0_8LoopDataIN4camp5tupleIJNS_4SpanINS_9Iterators16numeric_iteratorIllPlEElEESA_SA_SA_EEENS4_IJEEENS3_9resources2v13HipEJZN8rajaperf4apps13LTIMES_NOVIEW17runHipVariantImplILm256ELm0EEEvNSG_9VariantIDEEUlllllE_EEENS0_24HipStatementListExecutorISM_NS3_4listIJNS_9statement3ForILl1ENS_6policy3hip11hip_indexerINS_17iteration_mapping6DirectELNS_23kernel_sync_requirementE0EJNS_3hip11IndexGlobalILNS_9named_dimE2ELi2ELi0EEEEEEJNSQ_ILl2ENST_ISV_LSW_0EJNSY_ILSZ_1ELi4ELi0EEEEEEJNSQ_ILl3ENST_ISV_LSW_0EJNSY_ILSZ_0ELi32ELi0EEEEEEJNSQ_ILl0ENSR_10sequential8seq_execEJNSP_6LambdaILl0EJEEEEEEEEEEEEEEEEEENS0_9LoopTypesINSO_IJvvvvEEES1G_EEEEEEvT0_,comdat
	.protected	_ZN4RAJA8internal22HipKernelLauncherFixedILi256ENS0_8LoopDataIN4camp5tupleIJNS_4SpanINS_9Iterators16numeric_iteratorIllPlEElEESA_SA_SA_EEENS4_IJEEENS3_9resources2v13HipEJZN8rajaperf4apps13LTIMES_NOVIEW17runHipVariantImplILm256ELm0EEEvNSG_9VariantIDEEUlllllE_EEENS0_24HipStatementListExecutorISM_NS3_4listIJNS_9statement3ForILl1ENS_6policy3hip11hip_indexerINS_17iteration_mapping6DirectELNS_23kernel_sync_requirementE0EJNS_3hip11IndexGlobalILNS_9named_dimE2ELi2ELi0EEEEEEJNSQ_ILl2ENST_ISV_LSW_0EJNSY_ILSZ_1ELi4ELi0EEEEEEJNSQ_ILl3ENST_ISV_LSW_0EJNSY_ILSZ_0ELi32ELi0EEEEEEJNSQ_ILl0ENSR_10sequential8seq_execEJNSP_6LambdaILl0EJEEEEEEEEEEEEEEEEEENS0_9LoopTypesINSO_IJvvvvEEES1G_EEEEEEvT0_ ; -- Begin function _ZN4RAJA8internal22HipKernelLauncherFixedILi256ENS0_8LoopDataIN4camp5tupleIJNS_4SpanINS_9Iterators16numeric_iteratorIllPlEElEESA_SA_SA_EEENS4_IJEEENS3_9resources2v13HipEJZN8rajaperf4apps13LTIMES_NOVIEW17runHipVariantImplILm256ELm0EEEvNSG_9VariantIDEEUlllllE_EEENS0_24HipStatementListExecutorISM_NS3_4listIJNS_9statement3ForILl1ENS_6policy3hip11hip_indexerINS_17iteration_mapping6DirectELNS_23kernel_sync_requirementE0EJNS_3hip11IndexGlobalILNS_9named_dimE2ELi2ELi0EEEEEEJNSQ_ILl2ENST_ISV_LSW_0EJNSY_ILSZ_1ELi4ELi0EEEEEEJNSQ_ILl3ENST_ISV_LSW_0EJNSY_ILSZ_0ELi32ELi0EEEEEEJNSQ_ILl0ENSR_10sequential8seq_execEJNSP_6LambdaILl0EJEEEEEEEEEEEEEEEEEENS0_9LoopTypesINSO_IJvvvvEEES1G_EEEEEEvT0_
	.globl	_ZN4RAJA8internal22HipKernelLauncherFixedILi256ENS0_8LoopDataIN4camp5tupleIJNS_4SpanINS_9Iterators16numeric_iteratorIllPlEElEESA_SA_SA_EEENS4_IJEEENS3_9resources2v13HipEJZN8rajaperf4apps13LTIMES_NOVIEW17runHipVariantImplILm256ELm0EEEvNSG_9VariantIDEEUlllllE_EEENS0_24HipStatementListExecutorISM_NS3_4listIJNS_9statement3ForILl1ENS_6policy3hip11hip_indexerINS_17iteration_mapping6DirectELNS_23kernel_sync_requirementE0EJNS_3hip11IndexGlobalILNS_9named_dimE2ELi2ELi0EEEEEEJNSQ_ILl2ENST_ISV_LSW_0EJNSY_ILSZ_1ELi4ELi0EEEEEEJNSQ_ILl3ENST_ISV_LSW_0EJNSY_ILSZ_0ELi32ELi0EEEEEEJNSQ_ILl0ENSR_10sequential8seq_execEJNSP_6LambdaILl0EJEEEEEEEEEEEEEEEEEENS0_9LoopTypesINSO_IJvvvvEEES1G_EEEEEEvT0_
	.p2align	8
	.type	_ZN4RAJA8internal22HipKernelLauncherFixedILi256ENS0_8LoopDataIN4camp5tupleIJNS_4SpanINS_9Iterators16numeric_iteratorIllPlEElEESA_SA_SA_EEENS4_IJEEENS3_9resources2v13HipEJZN8rajaperf4apps13LTIMES_NOVIEW17runHipVariantImplILm256ELm0EEEvNSG_9VariantIDEEUlllllE_EEENS0_24HipStatementListExecutorISM_NS3_4listIJNS_9statement3ForILl1ENS_6policy3hip11hip_indexerINS_17iteration_mapping6DirectELNS_23kernel_sync_requirementE0EJNS_3hip11IndexGlobalILNS_9named_dimE2ELi2ELi0EEEEEEJNSQ_ILl2ENST_ISV_LSW_0EJNSY_ILSZ_1ELi4ELi0EEEEEEJNSQ_ILl3ENST_ISV_LSW_0EJNSY_ILSZ_0ELi32ELi0EEEEEEJNSQ_ILl0ENSR_10sequential8seq_execEJNSP_6LambdaILl0EJEEEEEEEEEEEEEEEEEENS0_9LoopTypesINSO_IJvvvvEEES1G_EEEEEEvT0_,@function
_ZN4RAJA8internal22HipKernelLauncherFixedILi256ENS0_8LoopDataIN4camp5tupleIJNS_4SpanINS_9Iterators16numeric_iteratorIllPlEElEESA_SA_SA_EEENS4_IJEEENS3_9resources2v13HipEJZN8rajaperf4apps13LTIMES_NOVIEW17runHipVariantImplILm256ELm0EEEvNSG_9VariantIDEEUlllllE_EEENS0_24HipStatementListExecutorISM_NS3_4listIJNS_9statement3ForILl1ENS_6policy3hip11hip_indexerINS_17iteration_mapping6DirectELNS_23kernel_sync_requirementE0EJNS_3hip11IndexGlobalILNS_9named_dimE2ELi2ELi0EEEEEEJNSQ_ILl2ENST_ISV_LSW_0EJNSY_ILSZ_1ELi4ELi0EEEEEEJNSQ_ILl3ENST_ISV_LSW_0EJNSY_ILSZ_0ELi32ELi0EEEEEEJNSQ_ILl0ENSR_10sequential8seq_execEJNSP_6LambdaILl0EJEEEEEEEEEEEEEEEEEENS0_9LoopTypesINSO_IJvvvvEEES1G_EEEEEEvT0_: ; @_ZN4RAJA8internal22HipKernelLauncherFixedILi256ENS0_8LoopDataIN4camp5tupleIJNS_4SpanINS_9Iterators16numeric_iteratorIllPlEElEESA_SA_SA_EEENS4_IJEEENS3_9resources2v13HipEJZN8rajaperf4apps13LTIMES_NOVIEW17runHipVariantImplILm256ELm0EEEvNSG_9VariantIDEEUlllllE_EEENS0_24HipStatementListExecutorISM_NS3_4listIJNS_9statement3ForILl1ENS_6policy3hip11hip_indexerINS_17iteration_mapping6DirectELNS_23kernel_sync_requirementE0EJNS_3hip11IndexGlobalILNS_9named_dimE2ELi2ELi0EEEEEEJNSQ_ILl2ENST_ISV_LSW_0EJNSY_ILSZ_1ELi4ELi0EEEEEEJNSQ_ILl3ENST_ISV_LSW_0EJNSY_ILSZ_0ELi32ELi0EEEEEEJNSQ_ILl0ENSR_10sequential8seq_execEJNSP_6LambdaILl0EJEEEEEEEEEEEEEEEEEENS0_9LoopTypesINSO_IJvvvvEEES1G_EEEEEEvT0_
; %bb.0:
	s_load_dwordx16 s[12:27], s[4:5], 0x0
	s_waitcnt lgkmcnt(0)
	s_sub_u32 s10, s14, s12
	s_subb_u32 s11, s15, s13
	v_cmp_lt_i64_e64 s[2:3], s[10:11], 1
	s_and_b64 vcc, exec, s[2:3]
	s_cbranch_vccnz .LBB2_5
; %bb.1:
	s_sub_u32 s2, s18, s16
	s_mov_b32 s9, 0
	s_subb_u32 s3, s19, s17
	s_lshl_b64 s[14:15], s[8:9], 1
	v_mov_b32_e32 v3, s15
	v_add_co_u32_e32 v2, vcc, s14, v2
	v_addc_co_u32_e32 v3, vcc, 0, v3, vcc
	s_mov_b32 s0, s7
	v_cmp_gt_i64_e32 vcc, s[2:3], v[2:3]
	s_sub_u32 s2, s22, s20
	s_mov_b32 s1, s9
	s_subb_u32 s3, s23, s21
	s_lshl_b64 s[0:1], s[0:1], 2
	v_mov_b32_e32 v5, s1
	v_add_co_u32_e64 v4, s[0:1], s0, v1
	v_addc_co_u32_e64 v5, s[0:1], 0, v5, s[0:1]
	v_cmp_gt_i64_e64 s[0:1], s[2:3], v[4:5]
	s_mov_b32 s7, s9
	s_and_b64 s[0:1], vcc, s[0:1]
	s_sub_u32 s2, s26, s24
	s_subb_u32 s3, s27, s25
	s_lshl_b64 s[6:7], s[6:7], 5
	v_mov_b32_e32 v1, s7
	v_add_co_u32_e32 v0, vcc, s6, v0
	v_addc_co_u32_e32 v1, vcc, 0, v1, vcc
	v_cmp_gt_i64_e32 vcc, s[2:3], v[0:1]
	v_mov_b32_e32 v6, s17
	s_and_b64 s[6:7], s[0:1], vcc
	s_load_dwordx8 s[36:43], s[4:5], 0x58
	s_load_dwordx4 s[0:3], s[4:5], 0x78
	v_add_co_u32_e32 v2, vcc, s16, v2
	v_addc_co_u32_e32 v3, vcc, v6, v3, vcc
	s_waitcnt lgkmcnt(0)
	v_mul_lo_u32 v7, s41, v2
	v_mul_lo_u32 v8, s40, v3
	v_mad_u64_u32 v[2:3], s[4:5], s40, v2, 0
	v_mov_b32_e32 v6, s21
	v_add_co_u32_e32 v4, vcc, s20, v4
	v_addc_co_u32_e32 v5, vcc, v6, v5, vcc
	v_add3_u32 v3, v3, v8, v7
	v_mul_lo_u32 v11, s39, v4
	v_mul_lo_u32 v12, s38, v5
	v_mad_u64_u32 v[6:7], s[4:5], s38, v4, 0
	v_mov_b32_e32 v10, s25
	v_add_co_u32_e32 v0, vcc, s24, v0
	v_addc_co_u32_e32 v1, vcc, v10, v1, vcc
	v_mul_lo_u32 v13, s38, v3
	v_mul_lo_u32 v14, s39, v2
	v_mad_u64_u32 v[8:9], s[4:5], s38, v2, 0
	v_add3_u32 v7, v7, v12, v11
	v_lshlrev_b64 v[10:11], 3, v[0:1]
	v_mov_b32_e32 v12, s37
	v_add_co_u32_e32 v10, vcc, s36, v10
	v_lshlrev_b64 v[6:7], 3, v[6:7]
	v_addc_co_u32_e32 v11, vcc, v12, v11, vcc
	v_add3_u32 v9, v9, v13, v14
	v_add_co_u32_e32 v10, vcc, v10, v6
	v_addc_co_u32_e32 v11, vcc, v11, v7, vcc
	v_lshlrev_b64 v[6:7], 3, v[8:9]
	v_mul_lo_u32 v12, s1, v0
	v_mul_lo_u32 v13, s0, v1
	v_mad_u64_u32 v[8:9], s[4:5], s0, v0, 0
	v_add_co_u32_e32 v0, vcc, v10, v6
	s_lshl_b64 s[4:5], s[12:13], 3
	v_lshlrev_b64 v[2:3], 3, v[2:3]
	v_lshlrev_b64 v[4:5], 3, v[4:5]
	v_addc_co_u32_e32 v1, vcc, v11, v7, vcc
	s_add_u32 s8, s42, s4
	s_addc_u32 s9, s43, s5
	v_add_co_u32_e32 v4, vcc, v2, v4
	v_add3_u32 v9, v9, v13, v12
	v_addc_co_u32_e32 v2, vcc, v3, v5, vcc
	s_add_u32 s2, s2, s4
	v_lshlrev_b64 v[6:7], 3, v[8:9]
	v_mul_lo_u32 v9, s0, v2
	s_addc_u32 s3, s3, s5
	v_mov_b32_e32 v2, s2
	v_mov_b32_e32 v3, s3
	v_mul_lo_u32 v10, s1, v4
	v_mad_u64_u32 v[2:3], s[0:1], s0, v4, v[2:3]
	v_mov_b32_e32 v8, s9
	v_add_co_u32_e32 v4, vcc, s8, v6
	v_addc_co_u32_e32 v5, vcc, v8, v7, vcc
	v_add3_u32 v3, v10, v3, v9
	s_mov_b64 s[2:3], 0
	s_branch .LBB2_3
.LBB2_2:                                ;   in Loop: Header=BB2_3 Depth=1
	s_or_b64 exec, exec, s[0:1]
	s_add_u32 s2, s2, 1
	v_add_co_u32_e32 v4, vcc, 8, v4
	v_mov_b32_e32 v6, s10
	s_addc_u32 s3, s3, 0
	v_addc_co_u32_e32 v5, vcc, 0, v5, vcc
	v_mov_b32_e32 v7, s11
	v_cmp_lt_i64_e32 vcc, s[2:3], v[6:7]
	v_add_co_u32_e64 v2, s[0:1], 8, v2
	v_addc_co_u32_e64 v3, s[0:1], 0, v3, s[0:1]
	s_cbranch_vccz .LBB2_5
.LBB2_3:                                ; =>This Inner Loop Header: Depth=1
	s_and_saveexec_b64 s[0:1], s[6:7]
	s_cbranch_execz .LBB2_2
; %bb.4:                                ;   in Loop: Header=BB2_3 Depth=1
	global_load_dwordx2 v[6:7], v[4:5], off
	global_load_dwordx2 v[8:9], v[2:3], off
	;; [unrolled: 1-line block ×3, first 2 shown]
	s_waitcnt vmcnt(0)
	v_fma_f64 v[6:7], v[6:7], v[8:9], v[10:11]
	global_store_dwordx2 v[0:1], v[6:7], off
	s_branch .LBB2_2
.LBB2_5:
	s_endpgm
	.section	.rodata,"a",@progbits
	.p2align	6, 0x0
	.amdhsa_kernel _ZN4RAJA8internal22HipKernelLauncherFixedILi256ENS0_8LoopDataIN4camp5tupleIJNS_4SpanINS_9Iterators16numeric_iteratorIllPlEElEESA_SA_SA_EEENS4_IJEEENS3_9resources2v13HipEJZN8rajaperf4apps13LTIMES_NOVIEW17runHipVariantImplILm256ELm0EEEvNSG_9VariantIDEEUlllllE_EEENS0_24HipStatementListExecutorISM_NS3_4listIJNS_9statement3ForILl1ENS_6policy3hip11hip_indexerINS_17iteration_mapping6DirectELNS_23kernel_sync_requirementE0EJNS_3hip11IndexGlobalILNS_9named_dimE2ELi2ELi0EEEEEEJNSQ_ILl2ENST_ISV_LSW_0EJNSY_ILSZ_1ELi4ELi0EEEEEEJNSQ_ILl3ENST_ISV_LSW_0EJNSY_ILSZ_0ELi32ELi0EEEEEEJNSQ_ILl0ENSR_10sequential8seq_execEJNSP_6LambdaILl0EJEEEEEEEEEEEEEEEEEENS0_9LoopTypesINSO_IJvvvvEEES1G_EEEEEEvT0_
		.amdhsa_group_segment_fixed_size 0
		.amdhsa_private_segment_fixed_size 0
		.amdhsa_kernarg_size 184
		.amdhsa_user_sgpr_count 6
		.amdhsa_user_sgpr_private_segment_buffer 1
		.amdhsa_user_sgpr_dispatch_ptr 0
		.amdhsa_user_sgpr_queue_ptr 0
		.amdhsa_user_sgpr_kernarg_segment_ptr 1
		.amdhsa_user_sgpr_dispatch_id 0
		.amdhsa_user_sgpr_flat_scratch_init 0
		.amdhsa_user_sgpr_private_segment_size 0
		.amdhsa_uses_dynamic_stack 0
		.amdhsa_system_sgpr_private_segment_wavefront_offset 0
		.amdhsa_system_sgpr_workgroup_id_x 1
		.amdhsa_system_sgpr_workgroup_id_y 1
		.amdhsa_system_sgpr_workgroup_id_z 1
		.amdhsa_system_sgpr_workgroup_info 0
		.amdhsa_system_vgpr_workitem_id 2
		.amdhsa_next_free_vgpr 15
		.amdhsa_next_free_sgpr 44
		.amdhsa_reserve_vcc 1
		.amdhsa_reserve_flat_scratch 0
		.amdhsa_float_round_mode_32 0
		.amdhsa_float_round_mode_16_64 0
		.amdhsa_float_denorm_mode_32 3
		.amdhsa_float_denorm_mode_16_64 3
		.amdhsa_dx10_clamp 1
		.amdhsa_ieee_mode 1
		.amdhsa_fp16_overflow 0
		.amdhsa_exception_fp_ieee_invalid_op 0
		.amdhsa_exception_fp_denorm_src 0
		.amdhsa_exception_fp_ieee_div_zero 0
		.amdhsa_exception_fp_ieee_overflow 0
		.amdhsa_exception_fp_ieee_underflow 0
		.amdhsa_exception_fp_ieee_inexact 0
		.amdhsa_exception_int_div_zero 0
	.end_amdhsa_kernel
	.section	.text._ZN4RAJA8internal22HipKernelLauncherFixedILi256ENS0_8LoopDataIN4camp5tupleIJNS_4SpanINS_9Iterators16numeric_iteratorIllPlEElEESA_SA_SA_EEENS4_IJEEENS3_9resources2v13HipEJZN8rajaperf4apps13LTIMES_NOVIEW17runHipVariantImplILm256ELm0EEEvNSG_9VariantIDEEUlllllE_EEENS0_24HipStatementListExecutorISM_NS3_4listIJNS_9statement3ForILl1ENS_6policy3hip11hip_indexerINS_17iteration_mapping6DirectELNS_23kernel_sync_requirementE0EJNS_3hip11IndexGlobalILNS_9named_dimE2ELi2ELi0EEEEEEJNSQ_ILl2ENST_ISV_LSW_0EJNSY_ILSZ_1ELi4ELi0EEEEEEJNSQ_ILl3ENST_ISV_LSW_0EJNSY_ILSZ_0ELi32ELi0EEEEEEJNSQ_ILl0ENSR_10sequential8seq_execEJNSP_6LambdaILl0EJEEEEEEEEEEEEEEEEEENS0_9LoopTypesINSO_IJvvvvEEES1G_EEEEEEvT0_,"axG",@progbits,_ZN4RAJA8internal22HipKernelLauncherFixedILi256ENS0_8LoopDataIN4camp5tupleIJNS_4SpanINS_9Iterators16numeric_iteratorIllPlEElEESA_SA_SA_EEENS4_IJEEENS3_9resources2v13HipEJZN8rajaperf4apps13LTIMES_NOVIEW17runHipVariantImplILm256ELm0EEEvNSG_9VariantIDEEUlllllE_EEENS0_24HipStatementListExecutorISM_NS3_4listIJNS_9statement3ForILl1ENS_6policy3hip11hip_indexerINS_17iteration_mapping6DirectELNS_23kernel_sync_requirementE0EJNS_3hip11IndexGlobalILNS_9named_dimE2ELi2ELi0EEEEEEJNSQ_ILl2ENST_ISV_LSW_0EJNSY_ILSZ_1ELi4ELi0EEEEEEJNSQ_ILl3ENST_ISV_LSW_0EJNSY_ILSZ_0ELi32ELi0EEEEEEJNSQ_ILl0ENSR_10sequential8seq_execEJNSP_6LambdaILl0EJEEEEEEEEEEEEEEEEEENS0_9LoopTypesINSO_IJvvvvEEES1G_EEEEEEvT0_,comdat
.Lfunc_end2:
	.size	_ZN4RAJA8internal22HipKernelLauncherFixedILi256ENS0_8LoopDataIN4camp5tupleIJNS_4SpanINS_9Iterators16numeric_iteratorIllPlEElEESA_SA_SA_EEENS4_IJEEENS3_9resources2v13HipEJZN8rajaperf4apps13LTIMES_NOVIEW17runHipVariantImplILm256ELm0EEEvNSG_9VariantIDEEUlllllE_EEENS0_24HipStatementListExecutorISM_NS3_4listIJNS_9statement3ForILl1ENS_6policy3hip11hip_indexerINS_17iteration_mapping6DirectELNS_23kernel_sync_requirementE0EJNS_3hip11IndexGlobalILNS_9named_dimE2ELi2ELi0EEEEEEJNSQ_ILl2ENST_ISV_LSW_0EJNSY_ILSZ_1ELi4ELi0EEEEEEJNSQ_ILl3ENST_ISV_LSW_0EJNSY_ILSZ_0ELi32ELi0EEEEEEJNSQ_ILl0ENSR_10sequential8seq_execEJNSP_6LambdaILl0EJEEEEEEEEEEEEEEEEEENS0_9LoopTypesINSO_IJvvvvEEES1G_EEEEEEvT0_, .Lfunc_end2-_ZN4RAJA8internal22HipKernelLauncherFixedILi256ENS0_8LoopDataIN4camp5tupleIJNS_4SpanINS_9Iterators16numeric_iteratorIllPlEElEESA_SA_SA_EEENS4_IJEEENS3_9resources2v13HipEJZN8rajaperf4apps13LTIMES_NOVIEW17runHipVariantImplILm256ELm0EEEvNSG_9VariantIDEEUlllllE_EEENS0_24HipStatementListExecutorISM_NS3_4listIJNS_9statement3ForILl1ENS_6policy3hip11hip_indexerINS_17iteration_mapping6DirectELNS_23kernel_sync_requirementE0EJNS_3hip11IndexGlobalILNS_9named_dimE2ELi2ELi0EEEEEEJNSQ_ILl2ENST_ISV_LSW_0EJNSY_ILSZ_1ELi4ELi0EEEEEEJNSQ_ILl3ENST_ISV_LSW_0EJNSY_ILSZ_0ELi32ELi0EEEEEEJNSQ_ILl0ENSR_10sequential8seq_execEJNSP_6LambdaILl0EJEEEEEEEEEEEEEEEEEENS0_9LoopTypesINSO_IJvvvvEEES1G_EEEEEEvT0_
                                        ; -- End function
	.set _ZN4RAJA8internal22HipKernelLauncherFixedILi256ENS0_8LoopDataIN4camp5tupleIJNS_4SpanINS_9Iterators16numeric_iteratorIllPlEElEESA_SA_SA_EEENS4_IJEEENS3_9resources2v13HipEJZN8rajaperf4apps13LTIMES_NOVIEW17runHipVariantImplILm256ELm0EEEvNSG_9VariantIDEEUlllllE_EEENS0_24HipStatementListExecutorISM_NS3_4listIJNS_9statement3ForILl1ENS_6policy3hip11hip_indexerINS_17iteration_mapping6DirectELNS_23kernel_sync_requirementE0EJNS_3hip11IndexGlobalILNS_9named_dimE2ELi2ELi0EEEEEEJNSQ_ILl2ENST_ISV_LSW_0EJNSY_ILSZ_1ELi4ELi0EEEEEEJNSQ_ILl3ENST_ISV_LSW_0EJNSY_ILSZ_0ELi32ELi0EEEEEEJNSQ_ILl0ENSR_10sequential8seq_execEJNSP_6LambdaILl0EJEEEEEEEEEEEEEEEEEENS0_9LoopTypesINSO_IJvvvvEEES1G_EEEEEEvT0_.num_vgpr, 15
	.set _ZN4RAJA8internal22HipKernelLauncherFixedILi256ENS0_8LoopDataIN4camp5tupleIJNS_4SpanINS_9Iterators16numeric_iteratorIllPlEElEESA_SA_SA_EEENS4_IJEEENS3_9resources2v13HipEJZN8rajaperf4apps13LTIMES_NOVIEW17runHipVariantImplILm256ELm0EEEvNSG_9VariantIDEEUlllllE_EEENS0_24HipStatementListExecutorISM_NS3_4listIJNS_9statement3ForILl1ENS_6policy3hip11hip_indexerINS_17iteration_mapping6DirectELNS_23kernel_sync_requirementE0EJNS_3hip11IndexGlobalILNS_9named_dimE2ELi2ELi0EEEEEEJNSQ_ILl2ENST_ISV_LSW_0EJNSY_ILSZ_1ELi4ELi0EEEEEEJNSQ_ILl3ENST_ISV_LSW_0EJNSY_ILSZ_0ELi32ELi0EEEEEEJNSQ_ILl0ENSR_10sequential8seq_execEJNSP_6LambdaILl0EJEEEEEEEEEEEEEEEEEENS0_9LoopTypesINSO_IJvvvvEEES1G_EEEEEEvT0_.num_agpr, 0
	.set _ZN4RAJA8internal22HipKernelLauncherFixedILi256ENS0_8LoopDataIN4camp5tupleIJNS_4SpanINS_9Iterators16numeric_iteratorIllPlEElEESA_SA_SA_EEENS4_IJEEENS3_9resources2v13HipEJZN8rajaperf4apps13LTIMES_NOVIEW17runHipVariantImplILm256ELm0EEEvNSG_9VariantIDEEUlllllE_EEENS0_24HipStatementListExecutorISM_NS3_4listIJNS_9statement3ForILl1ENS_6policy3hip11hip_indexerINS_17iteration_mapping6DirectELNS_23kernel_sync_requirementE0EJNS_3hip11IndexGlobalILNS_9named_dimE2ELi2ELi0EEEEEEJNSQ_ILl2ENST_ISV_LSW_0EJNSY_ILSZ_1ELi4ELi0EEEEEEJNSQ_ILl3ENST_ISV_LSW_0EJNSY_ILSZ_0ELi32ELi0EEEEEEJNSQ_ILl0ENSR_10sequential8seq_execEJNSP_6LambdaILl0EJEEEEEEEEEEEEEEEEEENS0_9LoopTypesINSO_IJvvvvEEES1G_EEEEEEvT0_.numbered_sgpr, 44
	.set _ZN4RAJA8internal22HipKernelLauncherFixedILi256ENS0_8LoopDataIN4camp5tupleIJNS_4SpanINS_9Iterators16numeric_iteratorIllPlEElEESA_SA_SA_EEENS4_IJEEENS3_9resources2v13HipEJZN8rajaperf4apps13LTIMES_NOVIEW17runHipVariantImplILm256ELm0EEEvNSG_9VariantIDEEUlllllE_EEENS0_24HipStatementListExecutorISM_NS3_4listIJNS_9statement3ForILl1ENS_6policy3hip11hip_indexerINS_17iteration_mapping6DirectELNS_23kernel_sync_requirementE0EJNS_3hip11IndexGlobalILNS_9named_dimE2ELi2ELi0EEEEEEJNSQ_ILl2ENST_ISV_LSW_0EJNSY_ILSZ_1ELi4ELi0EEEEEEJNSQ_ILl3ENST_ISV_LSW_0EJNSY_ILSZ_0ELi32ELi0EEEEEEJNSQ_ILl0ENSR_10sequential8seq_execEJNSP_6LambdaILl0EJEEEEEEEEEEEEEEEEEENS0_9LoopTypesINSO_IJvvvvEEES1G_EEEEEEvT0_.num_named_barrier, 0
	.set _ZN4RAJA8internal22HipKernelLauncherFixedILi256ENS0_8LoopDataIN4camp5tupleIJNS_4SpanINS_9Iterators16numeric_iteratorIllPlEElEESA_SA_SA_EEENS4_IJEEENS3_9resources2v13HipEJZN8rajaperf4apps13LTIMES_NOVIEW17runHipVariantImplILm256ELm0EEEvNSG_9VariantIDEEUlllllE_EEENS0_24HipStatementListExecutorISM_NS3_4listIJNS_9statement3ForILl1ENS_6policy3hip11hip_indexerINS_17iteration_mapping6DirectELNS_23kernel_sync_requirementE0EJNS_3hip11IndexGlobalILNS_9named_dimE2ELi2ELi0EEEEEEJNSQ_ILl2ENST_ISV_LSW_0EJNSY_ILSZ_1ELi4ELi0EEEEEEJNSQ_ILl3ENST_ISV_LSW_0EJNSY_ILSZ_0ELi32ELi0EEEEEEJNSQ_ILl0ENSR_10sequential8seq_execEJNSP_6LambdaILl0EJEEEEEEEEEEEEEEEEEENS0_9LoopTypesINSO_IJvvvvEEES1G_EEEEEEvT0_.private_seg_size, 0
	.set _ZN4RAJA8internal22HipKernelLauncherFixedILi256ENS0_8LoopDataIN4camp5tupleIJNS_4SpanINS_9Iterators16numeric_iteratorIllPlEElEESA_SA_SA_EEENS4_IJEEENS3_9resources2v13HipEJZN8rajaperf4apps13LTIMES_NOVIEW17runHipVariantImplILm256ELm0EEEvNSG_9VariantIDEEUlllllE_EEENS0_24HipStatementListExecutorISM_NS3_4listIJNS_9statement3ForILl1ENS_6policy3hip11hip_indexerINS_17iteration_mapping6DirectELNS_23kernel_sync_requirementE0EJNS_3hip11IndexGlobalILNS_9named_dimE2ELi2ELi0EEEEEEJNSQ_ILl2ENST_ISV_LSW_0EJNSY_ILSZ_1ELi4ELi0EEEEEEJNSQ_ILl3ENST_ISV_LSW_0EJNSY_ILSZ_0ELi32ELi0EEEEEEJNSQ_ILl0ENSR_10sequential8seq_execEJNSP_6LambdaILl0EJEEEEEEEEEEEEEEEEEENS0_9LoopTypesINSO_IJvvvvEEES1G_EEEEEEvT0_.uses_vcc, 1
	.set _ZN4RAJA8internal22HipKernelLauncherFixedILi256ENS0_8LoopDataIN4camp5tupleIJNS_4SpanINS_9Iterators16numeric_iteratorIllPlEElEESA_SA_SA_EEENS4_IJEEENS3_9resources2v13HipEJZN8rajaperf4apps13LTIMES_NOVIEW17runHipVariantImplILm256ELm0EEEvNSG_9VariantIDEEUlllllE_EEENS0_24HipStatementListExecutorISM_NS3_4listIJNS_9statement3ForILl1ENS_6policy3hip11hip_indexerINS_17iteration_mapping6DirectELNS_23kernel_sync_requirementE0EJNS_3hip11IndexGlobalILNS_9named_dimE2ELi2ELi0EEEEEEJNSQ_ILl2ENST_ISV_LSW_0EJNSY_ILSZ_1ELi4ELi0EEEEEEJNSQ_ILl3ENST_ISV_LSW_0EJNSY_ILSZ_0ELi32ELi0EEEEEEJNSQ_ILl0ENSR_10sequential8seq_execEJNSP_6LambdaILl0EJEEEEEEEEEEEEEEEEEENS0_9LoopTypesINSO_IJvvvvEEES1G_EEEEEEvT0_.uses_flat_scratch, 0
	.set _ZN4RAJA8internal22HipKernelLauncherFixedILi256ENS0_8LoopDataIN4camp5tupleIJNS_4SpanINS_9Iterators16numeric_iteratorIllPlEElEESA_SA_SA_EEENS4_IJEEENS3_9resources2v13HipEJZN8rajaperf4apps13LTIMES_NOVIEW17runHipVariantImplILm256ELm0EEEvNSG_9VariantIDEEUlllllE_EEENS0_24HipStatementListExecutorISM_NS3_4listIJNS_9statement3ForILl1ENS_6policy3hip11hip_indexerINS_17iteration_mapping6DirectELNS_23kernel_sync_requirementE0EJNS_3hip11IndexGlobalILNS_9named_dimE2ELi2ELi0EEEEEEJNSQ_ILl2ENST_ISV_LSW_0EJNSY_ILSZ_1ELi4ELi0EEEEEEJNSQ_ILl3ENST_ISV_LSW_0EJNSY_ILSZ_0ELi32ELi0EEEEEEJNSQ_ILl0ENSR_10sequential8seq_execEJNSP_6LambdaILl0EJEEEEEEEEEEEEEEEEEENS0_9LoopTypesINSO_IJvvvvEEES1G_EEEEEEvT0_.has_dyn_sized_stack, 0
	.set _ZN4RAJA8internal22HipKernelLauncherFixedILi256ENS0_8LoopDataIN4camp5tupleIJNS_4SpanINS_9Iterators16numeric_iteratorIllPlEElEESA_SA_SA_EEENS4_IJEEENS3_9resources2v13HipEJZN8rajaperf4apps13LTIMES_NOVIEW17runHipVariantImplILm256ELm0EEEvNSG_9VariantIDEEUlllllE_EEENS0_24HipStatementListExecutorISM_NS3_4listIJNS_9statement3ForILl1ENS_6policy3hip11hip_indexerINS_17iteration_mapping6DirectELNS_23kernel_sync_requirementE0EJNS_3hip11IndexGlobalILNS_9named_dimE2ELi2ELi0EEEEEEJNSQ_ILl2ENST_ISV_LSW_0EJNSY_ILSZ_1ELi4ELi0EEEEEEJNSQ_ILl3ENST_ISV_LSW_0EJNSY_ILSZ_0ELi32ELi0EEEEEEJNSQ_ILl0ENSR_10sequential8seq_execEJNSP_6LambdaILl0EJEEEEEEEEEEEEEEEEEENS0_9LoopTypesINSO_IJvvvvEEES1G_EEEEEEvT0_.has_recursion, 0
	.set _ZN4RAJA8internal22HipKernelLauncherFixedILi256ENS0_8LoopDataIN4camp5tupleIJNS_4SpanINS_9Iterators16numeric_iteratorIllPlEElEESA_SA_SA_EEENS4_IJEEENS3_9resources2v13HipEJZN8rajaperf4apps13LTIMES_NOVIEW17runHipVariantImplILm256ELm0EEEvNSG_9VariantIDEEUlllllE_EEENS0_24HipStatementListExecutorISM_NS3_4listIJNS_9statement3ForILl1ENS_6policy3hip11hip_indexerINS_17iteration_mapping6DirectELNS_23kernel_sync_requirementE0EJNS_3hip11IndexGlobalILNS_9named_dimE2ELi2ELi0EEEEEEJNSQ_ILl2ENST_ISV_LSW_0EJNSY_ILSZ_1ELi4ELi0EEEEEEJNSQ_ILl3ENST_ISV_LSW_0EJNSY_ILSZ_0ELi32ELi0EEEEEEJNSQ_ILl0ENSR_10sequential8seq_execEJNSP_6LambdaILl0EJEEEEEEEEEEEEEEEEEENS0_9LoopTypesINSO_IJvvvvEEES1G_EEEEEEvT0_.has_indirect_call, 0
	.section	.AMDGPU.csdata,"",@progbits
; Kernel info:
; codeLenInByte = 616
; TotalNumSgprs: 48
; NumVgprs: 15
; ScratchSize: 0
; MemoryBound: 1
; FloatMode: 240
; IeeeMode: 1
; LDSByteSize: 0 bytes/workgroup (compile time only)
; SGPRBlocks: 5
; VGPRBlocks: 3
; NumSGPRsForWavesPerEU: 48
; NumVGPRsForWavesPerEU: 15
; Occupancy: 10
; WaveLimiterHint : 0
; COMPUTE_PGM_RSRC2:SCRATCH_EN: 0
; COMPUTE_PGM_RSRC2:USER_SGPR: 6
; COMPUTE_PGM_RSRC2:TRAP_HANDLER: 0
; COMPUTE_PGM_RSRC2:TGID_X_EN: 1
; COMPUTE_PGM_RSRC2:TGID_Y_EN: 1
; COMPUTE_PGM_RSRC2:TGID_Z_EN: 1
; COMPUTE_PGM_RSRC2:TIDIG_COMP_CNT: 2
	.section	.text._ZN8rajaperf4apps17ltimes_noview_lamILm32ELm4ELm2EZNS0_13LTIMES_NOVIEW17runHipVariantImplILm256ELm1EEEvNS_9VariantIDEEUllllE_EEvlllT2_,"axG",@progbits,_ZN8rajaperf4apps17ltimes_noview_lamILm32ELm4ELm2EZNS0_13LTIMES_NOVIEW17runHipVariantImplILm256ELm1EEEvNS_9VariantIDEEUllllE_EEvlllT2_,comdat
	.protected	_ZN8rajaperf4apps17ltimes_noview_lamILm32ELm4ELm2EZNS0_13LTIMES_NOVIEW17runHipVariantImplILm256ELm1EEEvNS_9VariantIDEEUllllE_EEvlllT2_ ; -- Begin function _ZN8rajaperf4apps17ltimes_noview_lamILm32ELm4ELm2EZNS0_13LTIMES_NOVIEW17runHipVariantImplILm256ELm1EEEvNS_9VariantIDEEUllllE_EEvlllT2_
	.globl	_ZN8rajaperf4apps17ltimes_noview_lamILm32ELm4ELm2EZNS0_13LTIMES_NOVIEW17runHipVariantImplILm256ELm1EEEvNS_9VariantIDEEUllllE_EEvlllT2_
	.p2align	8
	.type	_ZN8rajaperf4apps17ltimes_noview_lamILm32ELm4ELm2EZNS0_13LTIMES_NOVIEW17runHipVariantImplILm256ELm1EEEvNS_9VariantIDEEUllllE_EEvlllT2_,@function
_ZN8rajaperf4apps17ltimes_noview_lamILm32ELm4ELm2EZNS0_13LTIMES_NOVIEW17runHipVariantImplILm256ELm1EEEvNS_9VariantIDEEUllllE_EEvlllT2_: ; @_ZN8rajaperf4apps17ltimes_noview_lamILm32ELm4ELm2EZNS0_13LTIMES_NOVIEW17runHipVariantImplILm256ELm1EEEvNS_9VariantIDEEUllllE_EEvlllT2_
; %bb.0:
	s_mov_b32 s0, s7
	s_mov_b32 s7, 0
	s_load_dwordx8 s[12:19], s[4:5], 0x0
	s_lshl_b64 s[2:3], s[6:7], 5
	v_mov_b32_e32 v4, s3
	v_add_co_u32_e32 v3, vcc, s2, v0
	s_mov_b32 s1, s7
	v_addc_co_u32_e32 v4, vcc, 0, v4, vcc
	s_lshl_b64 s[0:1], s[0:1], 2
	v_mov_b32_e32 v5, s1
	v_add_co_u32_e32 v0, vcc, s0, v1
	s_mov_b32 s9, s7
	v_addc_co_u32_e32 v1, vcc, 0, v5, vcc
	s_lshl_b64 s[2:3], s[8:9], 1
	v_mov_b32_e32 v6, s3
	s_waitcnt lgkmcnt(0)
	v_cmp_gt_i64_e32 vcc, s[12:13], v[3:4]
	v_cmp_gt_i64_e64 s[0:1], s[14:15], v[0:1]
	v_add_co_u32_e64 v5, s[2:3], s2, v2
	v_addc_co_u32_e64 v6, s[2:3], 0, v6, s[2:3]
	s_and_b64 s[0:1], vcc, s[0:1]
	v_cmp_gt_i64_e32 vcc, s[16:17], v[5:6]
	v_cmp_gt_i64_e64 s[2:3], s[18:19], 0
	s_and_b64 s[0:1], s[0:1], vcc
	s_and_b64 s[0:1], s[0:1], s[2:3]
	s_and_saveexec_b64 s[2:3], s[0:1]
	s_cbranch_execz .LBB3_3
; %bb.1:
	s_load_dwordx8 s[8:15], s[4:5], 0x20
	v_mul_lo_u32 v15, s19, v5
	v_mul_lo_u32 v14, s19, v0
	;; [unrolled: 1-line block ×3, first 2 shown]
	s_waitcnt lgkmcnt(0)
	v_mul_lo_u32 v11, s13, v5
	v_mul_lo_u32 v12, s12, v6
	v_mad_u64_u32 v[7:8], s[0:1], s12, v5, 0
	v_mul_lo_u32 v2, s11, v0
	v_mul_lo_u32 v13, s10, v1
	v_add3_u32 v8, v8, v12, v11
	v_mul_lo_u32 v11, v8, s10
	v_mul_lo_u32 v12, v7, s11
	v_mad_u64_u32 v[7:8], s[0:1], v7, s10, 0
	v_mad_u64_u32 v[9:10], s[0:1], s10, v0, 0
	v_add3_u32 v8, v8, v12, v11
	v_lshlrev_b64 v[11:12], 3, v[3:4]
	v_add3_u32 v10, v10, v13, v2
	v_mov_b32_e32 v2, s9
	v_add_co_u32_e32 v11, vcc, s8, v11
	v_lshlrev_b64 v[9:10], 3, v[9:10]
	v_addc_co_u32_e32 v2, vcc, v2, v12, vcc
	v_add_co_u32_e32 v9, vcc, v11, v9
	v_lshlrev_b64 v[7:8], 3, v[7:8]
	v_addc_co_u32_e32 v2, vcc, v2, v10, vcc
	v_add_co_u32_e32 v7, vcc, v9, v7
	v_addc_co_u32_e32 v8, vcc, v2, v8, vcc
	global_load_dwordx2 v[9:10], v[7:8], off
	v_mul_lo_u32 v11, s19, v3
	v_mul_lo_u32 v4, s18, v4
	v_mad_u64_u32 v[2:3], s[0:1], s18, v3, 0
	v_mul_lo_u32 v6, s18, v6
	s_load_dwordx2 s[0:1], s[4:5], 0x40
	v_add3_u32 v3, v3, v4, v11
	v_mad_u64_u32 v[4:5], s[2:3], s18, v5, 0
	v_mad_u64_u32 v[11:12], s[2:3], s18, v0, 0
	v_lshlrev_b64 v[2:3], 3, v[2:3]
	v_add3_u32 v0, v5, v6, v15
	v_mul_lo_u32 v6, v0, s12
	v_mul_lo_u32 v15, v4, s13
	v_mad_u64_u32 v[4:5], s[2:3], v4, s12, 0
	v_mov_b32_e32 v13, s15
	v_add_co_u32_e32 v0, vcc, s14, v2
	v_add3_u32 v12, v12, v16, v14
	v_addc_co_u32_e32 v1, vcc, v13, v3, vcc
	v_lshlrev_b64 v[2:3], 3, v[11:12]
	v_add3_u32 v5, v5, v15, v6
	s_waitcnt lgkmcnt(0)
	v_mov_b32_e32 v6, s1
	v_add_co_u32_e32 v11, vcc, s0, v2
	v_addc_co_u32_e32 v6, vcc, v6, v3, vcc
	v_lshlrev_b64 v[2:3], 3, v[4:5]
	v_add_co_u32_e32 v2, vcc, v11, v2
	v_addc_co_u32_e32 v3, vcc, v6, v3, vcc
.LBB3_2:                                ; =>This Inner Loop Header: Depth=1
	global_load_dwordx2 v[4:5], v[0:1], off
	global_load_dwordx2 v[11:12], v[2:3], off
	v_add_co_u32_e32 v0, vcc, 8, v0
	v_addc_co_u32_e32 v1, vcc, 0, v1, vcc
	s_add_u32 s18, s18, -1
	v_add_co_u32_e32 v2, vcc, 8, v2
	s_addc_u32 s19, s19, -1
	v_addc_co_u32_e32 v3, vcc, 0, v3, vcc
	s_cmp_lg_u64 s[18:19], 0
	s_waitcnt vmcnt(0)
	v_fma_f64 v[9:10], v[4:5], v[11:12], v[9:10]
	global_store_dwordx2 v[7:8], v[9:10], off
	s_cbranch_scc1 .LBB3_2
.LBB3_3:
	s_endpgm
	.section	.rodata,"a",@progbits
	.p2align	6, 0x0
	.amdhsa_kernel _ZN8rajaperf4apps17ltimes_noview_lamILm32ELm4ELm2EZNS0_13LTIMES_NOVIEW17runHipVariantImplILm256ELm1EEEvNS_9VariantIDEEUllllE_EEvlllT2_
		.amdhsa_group_segment_fixed_size 0
		.amdhsa_private_segment_fixed_size 0
		.amdhsa_kernarg_size 72
		.amdhsa_user_sgpr_count 6
		.amdhsa_user_sgpr_private_segment_buffer 1
		.amdhsa_user_sgpr_dispatch_ptr 0
		.amdhsa_user_sgpr_queue_ptr 0
		.amdhsa_user_sgpr_kernarg_segment_ptr 1
		.amdhsa_user_sgpr_dispatch_id 0
		.amdhsa_user_sgpr_flat_scratch_init 0
		.amdhsa_user_sgpr_private_segment_size 0
		.amdhsa_uses_dynamic_stack 0
		.amdhsa_system_sgpr_private_segment_wavefront_offset 0
		.amdhsa_system_sgpr_workgroup_id_x 1
		.amdhsa_system_sgpr_workgroup_id_y 1
		.amdhsa_system_sgpr_workgroup_id_z 1
		.amdhsa_system_sgpr_workgroup_info 0
		.amdhsa_system_vgpr_workitem_id 2
		.amdhsa_next_free_vgpr 17
		.amdhsa_next_free_sgpr 20
		.amdhsa_reserve_vcc 1
		.amdhsa_reserve_flat_scratch 0
		.amdhsa_float_round_mode_32 0
		.amdhsa_float_round_mode_16_64 0
		.amdhsa_float_denorm_mode_32 3
		.amdhsa_float_denorm_mode_16_64 3
		.amdhsa_dx10_clamp 1
		.amdhsa_ieee_mode 1
		.amdhsa_fp16_overflow 0
		.amdhsa_exception_fp_ieee_invalid_op 0
		.amdhsa_exception_fp_denorm_src 0
		.amdhsa_exception_fp_ieee_div_zero 0
		.amdhsa_exception_fp_ieee_overflow 0
		.amdhsa_exception_fp_ieee_underflow 0
		.amdhsa_exception_fp_ieee_inexact 0
		.amdhsa_exception_int_div_zero 0
	.end_amdhsa_kernel
	.section	.text._ZN8rajaperf4apps17ltimes_noview_lamILm32ELm4ELm2EZNS0_13LTIMES_NOVIEW17runHipVariantImplILm256ELm1EEEvNS_9VariantIDEEUllllE_EEvlllT2_,"axG",@progbits,_ZN8rajaperf4apps17ltimes_noview_lamILm32ELm4ELm2EZNS0_13LTIMES_NOVIEW17runHipVariantImplILm256ELm1EEEvNS_9VariantIDEEUllllE_EEvlllT2_,comdat
.Lfunc_end3:
	.size	_ZN8rajaperf4apps17ltimes_noview_lamILm32ELm4ELm2EZNS0_13LTIMES_NOVIEW17runHipVariantImplILm256ELm1EEEvNS_9VariantIDEEUllllE_EEvlllT2_, .Lfunc_end3-_ZN8rajaperf4apps17ltimes_noview_lamILm32ELm4ELm2EZNS0_13LTIMES_NOVIEW17runHipVariantImplILm256ELm1EEEvNS_9VariantIDEEUllllE_EEvlllT2_
                                        ; -- End function
	.set _ZN8rajaperf4apps17ltimes_noview_lamILm32ELm4ELm2EZNS0_13LTIMES_NOVIEW17runHipVariantImplILm256ELm1EEEvNS_9VariantIDEEUllllE_EEvlllT2_.num_vgpr, 17
	.set _ZN8rajaperf4apps17ltimes_noview_lamILm32ELm4ELm2EZNS0_13LTIMES_NOVIEW17runHipVariantImplILm256ELm1EEEvNS_9VariantIDEEUllllE_EEvlllT2_.num_agpr, 0
	.set _ZN8rajaperf4apps17ltimes_noview_lamILm32ELm4ELm2EZNS0_13LTIMES_NOVIEW17runHipVariantImplILm256ELm1EEEvNS_9VariantIDEEUllllE_EEvlllT2_.numbered_sgpr, 20
	.set _ZN8rajaperf4apps17ltimes_noview_lamILm32ELm4ELm2EZNS0_13LTIMES_NOVIEW17runHipVariantImplILm256ELm1EEEvNS_9VariantIDEEUllllE_EEvlllT2_.num_named_barrier, 0
	.set _ZN8rajaperf4apps17ltimes_noview_lamILm32ELm4ELm2EZNS0_13LTIMES_NOVIEW17runHipVariantImplILm256ELm1EEEvNS_9VariantIDEEUllllE_EEvlllT2_.private_seg_size, 0
	.set _ZN8rajaperf4apps17ltimes_noview_lamILm32ELm4ELm2EZNS0_13LTIMES_NOVIEW17runHipVariantImplILm256ELm1EEEvNS_9VariantIDEEUllllE_EEvlllT2_.uses_vcc, 1
	.set _ZN8rajaperf4apps17ltimes_noview_lamILm32ELm4ELm2EZNS0_13LTIMES_NOVIEW17runHipVariantImplILm256ELm1EEEvNS_9VariantIDEEUllllE_EEvlllT2_.uses_flat_scratch, 0
	.set _ZN8rajaperf4apps17ltimes_noview_lamILm32ELm4ELm2EZNS0_13LTIMES_NOVIEW17runHipVariantImplILm256ELm1EEEvNS_9VariantIDEEUllllE_EEvlllT2_.has_dyn_sized_stack, 0
	.set _ZN8rajaperf4apps17ltimes_noview_lamILm32ELm4ELm2EZNS0_13LTIMES_NOVIEW17runHipVariantImplILm256ELm1EEEvNS_9VariantIDEEUllllE_EEvlllT2_.has_recursion, 0
	.set _ZN8rajaperf4apps17ltimes_noview_lamILm32ELm4ELm2EZNS0_13LTIMES_NOVIEW17runHipVariantImplILm256ELm1EEEvNS_9VariantIDEEUllllE_EEvlllT2_.has_indirect_call, 0
	.section	.AMDGPU.csdata,"",@progbits
; Kernel info:
; codeLenInByte = 564
; TotalNumSgprs: 24
; NumVgprs: 17
; ScratchSize: 0
; MemoryBound: 0
; FloatMode: 240
; IeeeMode: 1
; LDSByteSize: 0 bytes/workgroup (compile time only)
; SGPRBlocks: 2
; VGPRBlocks: 4
; NumSGPRsForWavesPerEU: 24
; NumVGPRsForWavesPerEU: 17
; Occupancy: 10
; WaveLimiterHint : 0
; COMPUTE_PGM_RSRC2:SCRATCH_EN: 0
; COMPUTE_PGM_RSRC2:USER_SGPR: 6
; COMPUTE_PGM_RSRC2:TRAP_HANDLER: 0
; COMPUTE_PGM_RSRC2:TGID_X_EN: 1
; COMPUTE_PGM_RSRC2:TGID_Y_EN: 1
; COMPUTE_PGM_RSRC2:TGID_Z_EN: 1
; COMPUTE_PGM_RSRC2:TIDIG_COMP_CNT: 2
	.section	.text._ZN4RAJA34launch_new_reduce_global_fcn_fixedIZN8rajaperf4apps13LTIMES_NOVIEW17runHipVariantImplILm256ELm1EEEvNS1_9VariantIDEEUlNS_14LaunchContextTINS_3hip33LaunchContextIndicesAndDimsPolicyINS7_14IndicesAndDimsILb0ELb0ELb0ELb0EEEEEEEE_Li256ENS_4expt15ForallParamPackIJEEEEEvT_T1_,"axG",@progbits,_ZN4RAJA34launch_new_reduce_global_fcn_fixedIZN8rajaperf4apps13LTIMES_NOVIEW17runHipVariantImplILm256ELm1EEEvNS1_9VariantIDEEUlNS_14LaunchContextTINS_3hip33LaunchContextIndicesAndDimsPolicyINS7_14IndicesAndDimsILb0ELb0ELb0ELb0EEEEEEEE_Li256ENS_4expt15ForallParamPackIJEEEEEvT_T1_,comdat
	.protected	_ZN4RAJA34launch_new_reduce_global_fcn_fixedIZN8rajaperf4apps13LTIMES_NOVIEW17runHipVariantImplILm256ELm1EEEvNS1_9VariantIDEEUlNS_14LaunchContextTINS_3hip33LaunchContextIndicesAndDimsPolicyINS7_14IndicesAndDimsILb0ELb0ELb0ELb0EEEEEEEE_Li256ENS_4expt15ForallParamPackIJEEEEEvT_T1_ ; -- Begin function _ZN4RAJA34launch_new_reduce_global_fcn_fixedIZN8rajaperf4apps13LTIMES_NOVIEW17runHipVariantImplILm256ELm1EEEvNS1_9VariantIDEEUlNS_14LaunchContextTINS_3hip33LaunchContextIndicesAndDimsPolicyINS7_14IndicesAndDimsILb0ELb0ELb0ELb0EEEEEEEE_Li256ENS_4expt15ForallParamPackIJEEEEEvT_T1_
	.globl	_ZN4RAJA34launch_new_reduce_global_fcn_fixedIZN8rajaperf4apps13LTIMES_NOVIEW17runHipVariantImplILm256ELm1EEEvNS1_9VariantIDEEUlNS_14LaunchContextTINS_3hip33LaunchContextIndicesAndDimsPolicyINS7_14IndicesAndDimsILb0ELb0ELb0ELb0EEEEEEEE_Li256ENS_4expt15ForallParamPackIJEEEEEvT_T1_
	.p2align	8
	.type	_ZN4RAJA34launch_new_reduce_global_fcn_fixedIZN8rajaperf4apps13LTIMES_NOVIEW17runHipVariantImplILm256ELm1EEEvNS1_9VariantIDEEUlNS_14LaunchContextTINS_3hip33LaunchContextIndicesAndDimsPolicyINS7_14IndicesAndDimsILb0ELb0ELb0ELb0EEEEEEEE_Li256ENS_4expt15ForallParamPackIJEEEEEvT_T1_,@function
_ZN4RAJA34launch_new_reduce_global_fcn_fixedIZN8rajaperf4apps13LTIMES_NOVIEW17runHipVariantImplILm256ELm1EEEvNS1_9VariantIDEEUlNS_14LaunchContextTINS_3hip33LaunchContextIndicesAndDimsPolicyINS7_14IndicesAndDimsILb0ELb0ELb0ELb0EEEEEEEE_Li256ENS_4expt15ForallParamPackIJEEEEEvT_T1_: ; @_ZN4RAJA34launch_new_reduce_global_fcn_fixedIZN8rajaperf4apps13LTIMES_NOVIEW17runHipVariantImplILm256ELm1EEEvNS1_9VariantIDEEUlNS_14LaunchContextTINS_3hip33LaunchContextIndicesAndDimsPolicyINS7_14IndicesAndDimsILb0ELb0ELb0ELb0EEEEEEEE_Li256ENS_4expt15ForallParamPackIJEEEEEvT_T1_
; %bb.0:
	s_load_dwordx8 s[12:19], s[4:5], 0x0
	s_mov_b32 s9, 0
	s_lshl_b64 s[0:1], s[8:9], 1
	v_mov_b32_e32 v3, s1
	v_add_co_u32_e32 v2, vcc, s0, v2
	v_addc_co_u32_e32 v3, vcc, 0, v3, vcc
	s_waitcnt lgkmcnt(0)
	v_cmp_gt_i64_e32 vcc, s[12:13], v[2:3]
	s_and_saveexec_b64 s[0:1], vcc
	s_cbranch_execz .LBB4_12
; %bb.1:
	s_load_dwordx2 s[0:1], s[4:5], 0x30
	s_load_dwordx4 s[20:23], s[4:5], 0x20
	s_load_dwordx2 s[30:31], s[4:5], 0x44
	s_mov_b32 s28, s7
	s_add_u32 s4, s4, 64
	s_mov_b32 s29, s9
	s_waitcnt lgkmcnt(0)
	v_mov_b32_e32 v8, s0
	v_mov_b32_e32 v9, s1
	s_addc_u32 s5, s5, 0
	s_lshl_b64 s[0:1], s[28:29], 2
	v_mov_b32_e32 v5, s1
	v_add_co_u32_e32 v4, vcc, s0, v1
	s_mov_b32 s7, s9
	s_mov_b32 s8, s31
	v_addc_co_u32_e32 v5, vcc, 0, v5, vcc
	s_lshl_b64 s[2:3], s[6:7], 5
	v_mul_lo_u32 v15, s15, v2
	v_mul_lo_u32 v16, s14, v3
	v_mad_u64_u32 v[12:13], s[34:35], s14, v2, 0
	s_lshl_b64 s[10:11], s[8:9], 1
	s_mov_b32 s8, s30
	v_mov_b32_e32 v7, s3
	v_add_co_u32_e32 v6, vcc, s2, v0
	v_cmp_gt_i64_e64 s[26:27], s[18:19], 0
	s_lshl_b64 s[24:25], s[8:9], 2
	v_addc_co_u32_e32 v7, vcc, 0, v7, vcc
	s_and_b64 s[26:27], s[26:27], exec
	v_mul_lo_u32 v0, s19, v6
	v_mul_lo_u32 v14, s18, v7
	v_mad_u64_u32 v[10:11], s[34:35], s18, v6, 0
	s_cselect_b32 s33, s18, 0
	v_add3_u32 v13, v13, v16, v15
	s_cmp_gt_i32 s33, 0
	v_lshlrev_b64 v[12:13], 3, v[12:13]
	s_cselect_b64 s[26:27], -1, 0
	s_lshl_b64 s[28:29], s[28:29], 5
	v_add3_u32 v11, v11, v14, v0
	v_mov_b32_e32 v0, s29
	v_add_co_u32_e32 v12, vcc, s28, v12
	v_addc_co_u32_e32 v0, vcc, v13, v0, vcc
	v_lshlrev_b32_e32 v1, 3, v1
	v_add_co_u32_e32 v1, vcc, v12, v1
	v_addc_co_u32_e32 v0, vcc, 0, v0, vcc
	v_mul_lo_u32 v12, s18, v0
	v_mul_lo_u32 v13, s19, v1
	v_mad_u64_u32 v[0:1], s[28:29], s18, v1, v[8:9]
	s_mul_i32 s8, s14, s19
	s_mul_hi_u32 s28, s14, s18
	s_add_i32 s8, s28, s8
	s_mul_i32 s28, s15, s18
	v_lshlrev_b64 v[10:11], 3, v[10:11]
	s_add_i32 s8, s8, s28
	s_mul_i32 s28, s14, s18
	s_mul_i32 s8, s8, s31
	s_mul_hi_u32 s29, s28, s31
	v_mov_b32_e32 v14, s23
	v_add_co_u32_e32 v8, vcc, s22, v10
	s_lshl_b64 s[22:23], s[18:19], 8
	s_add_i32 s29, s29, s8
	s_mul_i32 s8, s19, s30
	s_mul_hi_u32 s19, s18, s30
	v_cmp_gt_i64_e64 s[0:1], s[14:15], v[4:5]
	v_cmp_gt_i64_e64 s[2:3], s[16:17], v[6:7]
	s_mul_i32 s28, s28, s31
	s_add_i32 s19, s19, s8
	s_mul_i32 s18, s18, s30
	s_mov_b64 s[6:7], 0
	v_addc_co_u32_e32 v9, vcc, v14, v11, vcc
	v_add3_u32 v1, v13, v1, v12
	s_lshl_b64 s[28:29], s[28:29], 4
	s_lshl_b64 s[18:19], s[18:19], 5
	s_branch .LBB4_3
.LBB4_2:                                ;   in Loop: Header=BB4_3 Depth=1
	s_or_b64 exec, exec, s[30:31]
	v_mov_b32_e32 v10, s11
	v_add_co_u32_e32 v2, vcc, s10, v2
	v_addc_co_u32_e32 v3, vcc, v3, v10, vcc
	v_cmp_le_i64_e32 vcc, s[12:13], v[2:3]
	v_mov_b32_e32 v10, s29
	s_or_b64 s[6:7], vcc, s[6:7]
	v_add_co_u32_e32 v0, vcc, s28, v0
	v_addc_co_u32_e32 v1, vcc, v1, v10, vcc
	s_andn2_b64 exec, exec, s[6:7]
	s_cbranch_execz .LBB4_12
.LBB4_3:                                ; =>This Loop Header: Depth=1
                                        ;     Child Loop BB4_6 Depth 2
                                        ;       Child Loop BB4_9 Depth 3
                                        ;         Child Loop BB4_11 Depth 4
	s_and_saveexec_b64 s[30:31], s[0:1]
	s_cbranch_execz .LBB4_2
; %bb.4:                                ;   in Loop: Header=BB4_3 Depth=1
	v_mul_lo_u32 v12, v3, s14
	v_mul_lo_u32 v13, v2, s15
	v_mad_u64_u32 v[10:11], s[34:35], v2, s14, 0
	s_load_dword s8, s[4:5], 0x0
	v_add3_u32 v11, v11, v13, v12
	v_mul_lo_u32 v12, v11, s16
	v_mul_lo_u32 v13, v10, s17
	v_mad_u64_u32 v[10:11], s[34:35], v10, s16, 0
	s_waitcnt lgkmcnt(0)
	s_mul_i32 s36, s23, s8
	s_mul_hi_u32 s37, s22, s8
	v_add3_u32 v11, v11, v13, v12
	v_lshlrev_b64 v[10:11], 3, v[10:11]
	v_mov_b32_e32 v12, s21
	v_add_co_u32_e32 v26, vcc, s20, v10
	v_addc_co_u32_e32 v27, vcc, v12, v11, vcc
	v_mov_b32_e32 v11, v1
	v_mov_b32_e32 v13, v5
	s_lshl_b64 s[34:35], s[8:9], 5
	s_add_i32 s42, s37, s36
	s_mul_i32 s8, s22, s8
	s_mov_b64 s[36:37], 0
	v_mov_b32_e32 v10, v0
	v_mov_b32_e32 v12, v4
	s_branch .LBB4_6
.LBB4_5:                                ;   in Loop: Header=BB4_6 Depth=2
	s_or_b64 exec, exec, s[38:39]
	v_mov_b32_e32 v14, s25
	v_add_co_u32_e32 v12, vcc, s24, v12
	v_addc_co_u32_e32 v13, vcc, v13, v14, vcc
	v_cmp_le_i64_e32 vcc, s[14:15], v[12:13]
	v_mov_b32_e32 v14, s19
	s_or_b64 s[36:37], vcc, s[36:37]
	v_add_co_u32_e32 v10, vcc, s18, v10
	v_addc_co_u32_e32 v11, vcc, v11, v14, vcc
	s_andn2_b64 exec, exec, s[36:37]
	s_cbranch_execz .LBB4_2
.LBB4_6:                                ;   Parent Loop BB4_3 Depth=1
                                        ; =>  This Loop Header: Depth=2
                                        ;       Child Loop BB4_9 Depth 3
                                        ;         Child Loop BB4_11 Depth 4
	s_and_saveexec_b64 s[38:39], s[2:3]
	s_cbranch_execz .LBB4_5
; %bb.7:                                ;   in Loop: Header=BB4_6 Depth=2
	v_mul_lo_u32 v16, v13, s16
	v_mul_lo_u32 v17, v12, s17
	v_mad_u64_u32 v[14:15], s[40:41], v12, s16, 0
	s_mov_b64 s[40:41], 0
	v_add3_u32 v15, v15, v17, v16
	v_lshlrev_b64 v[14:15], 3, v[14:15]
	v_mov_b32_e32 v17, v7
	v_add_co_u32_e32 v28, vcc, v26, v14
	v_addc_co_u32_e32 v29, vcc, v27, v15, vcc
	v_mov_b32_e32 v15, v9
	v_mov_b32_e32 v14, v8
	;; [unrolled: 1-line block ×3, first 2 shown]
	s_branch .LBB4_9
.LBB4_8:                                ;   in Loop: Header=BB4_9 Depth=3
	v_mov_b32_e32 v18, s35
	v_add_co_u32_e32 v16, vcc, s34, v16
	v_addc_co_u32_e32 v17, vcc, v17, v18, vcc
	v_cmp_le_i64_e32 vcc, s[16:17], v[16:17]
	v_mov_b32_e32 v18, s42
	s_or_b64 s[40:41], vcc, s[40:41]
	v_add_co_u32_e32 v14, vcc, s8, v14
	v_addc_co_u32_e32 v15, vcc, v15, v18, vcc
	s_andn2_b64 exec, exec, s[40:41]
	s_cbranch_execz .LBB4_5
.LBB4_9:                                ;   Parent Loop BB4_3 Depth=1
                                        ;     Parent Loop BB4_6 Depth=2
                                        ; =>    This Loop Header: Depth=3
                                        ;         Child Loop BB4_11 Depth 4
	s_andn2_b64 vcc, exec, s[26:27]
	s_cbranch_vccnz .LBB4_8
; %bb.10:                               ;   in Loop: Header=BB4_9 Depth=3
	v_lshlrev_b64 v[18:19], 3, v[16:17]
	v_mov_b32_e32 v23, v11
	v_add_co_u32_e32 v18, vcc, v28, v18
	v_addc_co_u32_e32 v19, vcc, v29, v19, vcc
	global_load_dwordx2 v[20:21], v[18:19], off
	v_mov_b32_e32 v25, v15
	v_mov_b32_e32 v22, v10
	;; [unrolled: 1-line block ×3, first 2 shown]
	s_mov_b32 s43, s33
.LBB4_11:                               ;   Parent Loop BB4_3 Depth=1
                                        ;     Parent Loop BB4_6 Depth=2
                                        ;       Parent Loop BB4_9 Depth=3
                                        ; =>      This Inner Loop Header: Depth=4
	global_load_dwordx2 v[30:31], v[24:25], off
	global_load_dwordx2 v[32:33], v[22:23], off
	v_add_co_u32_e32 v24, vcc, 8, v24
	v_addc_co_u32_e32 v25, vcc, 0, v25, vcc
	s_add_i32 s43, s43, -1
	v_add_co_u32_e32 v22, vcc, 8, v22
	v_addc_co_u32_e32 v23, vcc, 0, v23, vcc
	s_cmp_lg_u32 s43, 0
	s_waitcnt vmcnt(0)
	v_fma_f64 v[20:21], v[30:31], v[32:33], v[20:21]
	global_store_dwordx2 v[18:19], v[20:21], off
	s_cbranch_scc1 .LBB4_11
	s_branch .LBB4_8
.LBB4_12:
	s_endpgm
	.section	.rodata,"a",@progbits
	.p2align	6, 0x0
	.amdhsa_kernel _ZN4RAJA34launch_new_reduce_global_fcn_fixedIZN8rajaperf4apps13LTIMES_NOVIEW17runHipVariantImplILm256ELm1EEEvNS1_9VariantIDEEUlNS_14LaunchContextTINS_3hip33LaunchContextIndicesAndDimsPolicyINS7_14IndicesAndDimsILb0ELb0ELb0ELb0EEEEEEEE_Li256ENS_4expt15ForallParamPackIJEEEEEvT_T1_
		.amdhsa_group_segment_fixed_size 0
		.amdhsa_private_segment_fixed_size 0
		.amdhsa_kernarg_size 320
		.amdhsa_user_sgpr_count 6
		.amdhsa_user_sgpr_private_segment_buffer 1
		.amdhsa_user_sgpr_dispatch_ptr 0
		.amdhsa_user_sgpr_queue_ptr 0
		.amdhsa_user_sgpr_kernarg_segment_ptr 1
		.amdhsa_user_sgpr_dispatch_id 0
		.amdhsa_user_sgpr_flat_scratch_init 0
		.amdhsa_user_sgpr_private_segment_size 0
		.amdhsa_uses_dynamic_stack 0
		.amdhsa_system_sgpr_private_segment_wavefront_offset 0
		.amdhsa_system_sgpr_workgroup_id_x 1
		.amdhsa_system_sgpr_workgroup_id_y 1
		.amdhsa_system_sgpr_workgroup_id_z 1
		.amdhsa_system_sgpr_workgroup_info 0
		.amdhsa_system_vgpr_workitem_id 2
		.amdhsa_next_free_vgpr 34
		.amdhsa_next_free_sgpr 44
		.amdhsa_reserve_vcc 1
		.amdhsa_reserve_flat_scratch 0
		.amdhsa_float_round_mode_32 0
		.amdhsa_float_round_mode_16_64 0
		.amdhsa_float_denorm_mode_32 3
		.amdhsa_float_denorm_mode_16_64 3
		.amdhsa_dx10_clamp 1
		.amdhsa_ieee_mode 1
		.amdhsa_fp16_overflow 0
		.amdhsa_exception_fp_ieee_invalid_op 0
		.amdhsa_exception_fp_denorm_src 0
		.amdhsa_exception_fp_ieee_div_zero 0
		.amdhsa_exception_fp_ieee_overflow 0
		.amdhsa_exception_fp_ieee_underflow 0
		.amdhsa_exception_fp_ieee_inexact 0
		.amdhsa_exception_int_div_zero 0
	.end_amdhsa_kernel
	.section	.text._ZN4RAJA34launch_new_reduce_global_fcn_fixedIZN8rajaperf4apps13LTIMES_NOVIEW17runHipVariantImplILm256ELm1EEEvNS1_9VariantIDEEUlNS_14LaunchContextTINS_3hip33LaunchContextIndicesAndDimsPolicyINS7_14IndicesAndDimsILb0ELb0ELb0ELb0EEEEEEEE_Li256ENS_4expt15ForallParamPackIJEEEEEvT_T1_,"axG",@progbits,_ZN4RAJA34launch_new_reduce_global_fcn_fixedIZN8rajaperf4apps13LTIMES_NOVIEW17runHipVariantImplILm256ELm1EEEvNS1_9VariantIDEEUlNS_14LaunchContextTINS_3hip33LaunchContextIndicesAndDimsPolicyINS7_14IndicesAndDimsILb0ELb0ELb0ELb0EEEEEEEE_Li256ENS_4expt15ForallParamPackIJEEEEEvT_T1_,comdat
.Lfunc_end4:
	.size	_ZN4RAJA34launch_new_reduce_global_fcn_fixedIZN8rajaperf4apps13LTIMES_NOVIEW17runHipVariantImplILm256ELm1EEEvNS1_9VariantIDEEUlNS_14LaunchContextTINS_3hip33LaunchContextIndicesAndDimsPolicyINS7_14IndicesAndDimsILb0ELb0ELb0ELb0EEEEEEEE_Li256ENS_4expt15ForallParamPackIJEEEEEvT_T1_, .Lfunc_end4-_ZN4RAJA34launch_new_reduce_global_fcn_fixedIZN8rajaperf4apps13LTIMES_NOVIEW17runHipVariantImplILm256ELm1EEEvNS1_9VariantIDEEUlNS_14LaunchContextTINS_3hip33LaunchContextIndicesAndDimsPolicyINS7_14IndicesAndDimsILb0ELb0ELb0ELb0EEEEEEEE_Li256ENS_4expt15ForallParamPackIJEEEEEvT_T1_
                                        ; -- End function
	.set _ZN4RAJA34launch_new_reduce_global_fcn_fixedIZN8rajaperf4apps13LTIMES_NOVIEW17runHipVariantImplILm256ELm1EEEvNS1_9VariantIDEEUlNS_14LaunchContextTINS_3hip33LaunchContextIndicesAndDimsPolicyINS7_14IndicesAndDimsILb0ELb0ELb0ELb0EEEEEEEE_Li256ENS_4expt15ForallParamPackIJEEEEEvT_T1_.num_vgpr, 34
	.set _ZN4RAJA34launch_new_reduce_global_fcn_fixedIZN8rajaperf4apps13LTIMES_NOVIEW17runHipVariantImplILm256ELm1EEEvNS1_9VariantIDEEUlNS_14LaunchContextTINS_3hip33LaunchContextIndicesAndDimsPolicyINS7_14IndicesAndDimsILb0ELb0ELb0ELb0EEEEEEEE_Li256ENS_4expt15ForallParamPackIJEEEEEvT_T1_.num_agpr, 0
	.set _ZN4RAJA34launch_new_reduce_global_fcn_fixedIZN8rajaperf4apps13LTIMES_NOVIEW17runHipVariantImplILm256ELm1EEEvNS1_9VariantIDEEUlNS_14LaunchContextTINS_3hip33LaunchContextIndicesAndDimsPolicyINS7_14IndicesAndDimsILb0ELb0ELb0ELb0EEEEEEEE_Li256ENS_4expt15ForallParamPackIJEEEEEvT_T1_.numbered_sgpr, 44
	.set _ZN4RAJA34launch_new_reduce_global_fcn_fixedIZN8rajaperf4apps13LTIMES_NOVIEW17runHipVariantImplILm256ELm1EEEvNS1_9VariantIDEEUlNS_14LaunchContextTINS_3hip33LaunchContextIndicesAndDimsPolicyINS7_14IndicesAndDimsILb0ELb0ELb0ELb0EEEEEEEE_Li256ENS_4expt15ForallParamPackIJEEEEEvT_T1_.num_named_barrier, 0
	.set _ZN4RAJA34launch_new_reduce_global_fcn_fixedIZN8rajaperf4apps13LTIMES_NOVIEW17runHipVariantImplILm256ELm1EEEvNS1_9VariantIDEEUlNS_14LaunchContextTINS_3hip33LaunchContextIndicesAndDimsPolicyINS7_14IndicesAndDimsILb0ELb0ELb0ELb0EEEEEEEE_Li256ENS_4expt15ForallParamPackIJEEEEEvT_T1_.private_seg_size, 0
	.set _ZN4RAJA34launch_new_reduce_global_fcn_fixedIZN8rajaperf4apps13LTIMES_NOVIEW17runHipVariantImplILm256ELm1EEEvNS1_9VariantIDEEUlNS_14LaunchContextTINS_3hip33LaunchContextIndicesAndDimsPolicyINS7_14IndicesAndDimsILb0ELb0ELb0ELb0EEEEEEEE_Li256ENS_4expt15ForallParamPackIJEEEEEvT_T1_.uses_vcc, 1
	.set _ZN4RAJA34launch_new_reduce_global_fcn_fixedIZN8rajaperf4apps13LTIMES_NOVIEW17runHipVariantImplILm256ELm1EEEvNS1_9VariantIDEEUlNS_14LaunchContextTINS_3hip33LaunchContextIndicesAndDimsPolicyINS7_14IndicesAndDimsILb0ELb0ELb0ELb0EEEEEEEE_Li256ENS_4expt15ForallParamPackIJEEEEEvT_T1_.uses_flat_scratch, 0
	.set _ZN4RAJA34launch_new_reduce_global_fcn_fixedIZN8rajaperf4apps13LTIMES_NOVIEW17runHipVariantImplILm256ELm1EEEvNS1_9VariantIDEEUlNS_14LaunchContextTINS_3hip33LaunchContextIndicesAndDimsPolicyINS7_14IndicesAndDimsILb0ELb0ELb0ELb0EEEEEEEE_Li256ENS_4expt15ForallParamPackIJEEEEEvT_T1_.has_dyn_sized_stack, 0
	.set _ZN4RAJA34launch_new_reduce_global_fcn_fixedIZN8rajaperf4apps13LTIMES_NOVIEW17runHipVariantImplILm256ELm1EEEvNS1_9VariantIDEEUlNS_14LaunchContextTINS_3hip33LaunchContextIndicesAndDimsPolicyINS7_14IndicesAndDimsILb0ELb0ELb0ELb0EEEEEEEE_Li256ENS_4expt15ForallParamPackIJEEEEEvT_T1_.has_recursion, 0
	.set _ZN4RAJA34launch_new_reduce_global_fcn_fixedIZN8rajaperf4apps13LTIMES_NOVIEW17runHipVariantImplILm256ELm1EEEvNS1_9VariantIDEEUlNS_14LaunchContextTINS_3hip33LaunchContextIndicesAndDimsPolicyINS7_14IndicesAndDimsILb0ELb0ELb0ELb0EEEEEEEE_Li256ENS_4expt15ForallParamPackIJEEEEEvT_T1_.has_indirect_call, 0
	.section	.AMDGPU.csdata,"",@progbits
; Kernel info:
; codeLenInByte = 896
; TotalNumSgprs: 48
; NumVgprs: 34
; ScratchSize: 0
; MemoryBound: 0
; FloatMode: 240
; IeeeMode: 1
; LDSByteSize: 0 bytes/workgroup (compile time only)
; SGPRBlocks: 5
; VGPRBlocks: 8
; NumSGPRsForWavesPerEU: 48
; NumVGPRsForWavesPerEU: 34
; Occupancy: 7
; WaveLimiterHint : 0
; COMPUTE_PGM_RSRC2:SCRATCH_EN: 0
; COMPUTE_PGM_RSRC2:USER_SGPR: 6
; COMPUTE_PGM_RSRC2:TRAP_HANDLER: 0
; COMPUTE_PGM_RSRC2:TGID_X_EN: 1
; COMPUTE_PGM_RSRC2:TGID_Y_EN: 1
; COMPUTE_PGM_RSRC2:TGID_Z_EN: 1
; COMPUTE_PGM_RSRC2:TIDIG_COMP_CNT: 2
	.section	.AMDGPU.gpr_maximums,"",@progbits
	.set amdgpu.max_num_vgpr, 0
	.set amdgpu.max_num_agpr, 0
	.set amdgpu.max_num_sgpr, 0
	.section	.AMDGPU.csdata,"",@progbits
	.type	__hip_cuid_db4ae968e64ca1f0,@object ; @__hip_cuid_db4ae968e64ca1f0
	.section	.bss,"aw",@nobits
	.globl	__hip_cuid_db4ae968e64ca1f0
__hip_cuid_db4ae968e64ca1f0:
	.byte	0                               ; 0x0
	.size	__hip_cuid_db4ae968e64ca1f0, 1

	.ident	"AMD clang version 22.0.0git (https://github.com/RadeonOpenCompute/llvm-project roc-7.2.4 26084 f58b06dce1f9c15707c5f808fd002e18c2accf7e)"
	.section	".note.GNU-stack","",@progbits
	.addrsig
	.addrsig_sym __hip_cuid_db4ae968e64ca1f0
	.amdgpu_metadata
---
amdhsa.kernels:
  - .args:
      - .address_space:  global
        .offset:         0
        .size:           8
        .value_kind:     global_buffer
      - .address_space:  global
        .offset:         8
        .size:           8
        .value_kind:     global_buffer
      - .address_space:  global
        .offset:         16
        .size:           8
        .value_kind:     global_buffer
      - .offset:         24
        .size:           8
        .value_kind:     by_value
      - .offset:         32
        .size:           8
        .value_kind:     by_value
      - .offset:         40
        .size:           8
        .value_kind:     by_value
      - .offset:         48
        .size:           8
        .value_kind:     by_value
    .group_segment_fixed_size: 0
    .kernarg_segment_align: 8
    .kernarg_segment_size: 56
    .language:       OpenCL C
    .language_version:
      - 2
      - 0
    .max_flat_workgroup_size: 256
    .name:           _ZN8rajaperf4apps13ltimes_noviewILm32ELm4ELm2EEEvPdS2_S2_llll
    .private_segment_fixed_size: 0
    .sgpr_count:     32
    .sgpr_spill_count: 0
    .symbol:         _ZN8rajaperf4apps13ltimes_noviewILm32ELm4ELm2EEEvPdS2_S2_llll.kd
    .uniform_work_group_size: 1
    .uses_dynamic_stack: false
    .vgpr_count:     17
    .vgpr_spill_count: 0
    .wavefront_size: 64
  - .args:
      - .offset:         0
        .size:           8
        .value_kind:     by_value
      - .offset:         8
        .size:           8
        .value_kind:     by_value
      - .offset:         16
        .size:           8
        .value_kind:     by_value
      - .offset:         24
        .size:           48
        .value_kind:     by_value
    .group_segment_fixed_size: 0
    .kernarg_segment_align: 8
    .kernarg_segment_size: 72
    .language:       OpenCL C
    .language_version:
      - 2
      - 0
    .max_flat_workgroup_size: 256
    .name:           _ZN8rajaperf4apps17ltimes_noview_lamILm32ELm4ELm2EZNS0_13LTIMES_NOVIEW17runHipVariantImplILm256ELm0EEEvNS_9VariantIDEEUllllE_EEvlllT2_
    .private_segment_fixed_size: 0
    .sgpr_count:     24
    .sgpr_spill_count: 0
    .symbol:         _ZN8rajaperf4apps17ltimes_noview_lamILm32ELm4ELm2EZNS0_13LTIMES_NOVIEW17runHipVariantImplILm256ELm0EEEvNS_9VariantIDEEUllllE_EEvlllT2_.kd
    .uniform_work_group_size: 1
    .uses_dynamic_stack: false
    .vgpr_count:     17
    .vgpr_spill_count: 0
    .wavefront_size: 64
  - .args:
      - .offset:         0
        .size:           184
        .value_kind:     by_value
    .group_segment_fixed_size: 0
    .kernarg_segment_align: 8
    .kernarg_segment_size: 184
    .language:       OpenCL C
    .language_version:
      - 2
      - 0
    .max_flat_workgroup_size: 256
    .name:           _ZN4RAJA8internal22HipKernelLauncherFixedILi256ENS0_8LoopDataIN4camp5tupleIJNS_4SpanINS_9Iterators16numeric_iteratorIllPlEElEESA_SA_SA_EEENS4_IJEEENS3_9resources2v13HipEJZN8rajaperf4apps13LTIMES_NOVIEW17runHipVariantImplILm256ELm0EEEvNSG_9VariantIDEEUlllllE_EEENS0_24HipStatementListExecutorISM_NS3_4listIJNS_9statement3ForILl1ENS_6policy3hip11hip_indexerINS_17iteration_mapping6DirectELNS_23kernel_sync_requirementE0EJNS_3hip11IndexGlobalILNS_9named_dimE2ELi2ELi0EEEEEEJNSQ_ILl2ENST_ISV_LSW_0EJNSY_ILSZ_1ELi4ELi0EEEEEEJNSQ_ILl3ENST_ISV_LSW_0EJNSY_ILSZ_0ELi32ELi0EEEEEEJNSQ_ILl0ENSR_10sequential8seq_execEJNSP_6LambdaILl0EJEEEEEEEEEEEEEEEEEENS0_9LoopTypesINSO_IJvvvvEEES1G_EEEEEEvT0_
    .private_segment_fixed_size: 0
    .sgpr_count:     48
    .sgpr_spill_count: 0
    .symbol:         _ZN4RAJA8internal22HipKernelLauncherFixedILi256ENS0_8LoopDataIN4camp5tupleIJNS_4SpanINS_9Iterators16numeric_iteratorIllPlEElEESA_SA_SA_EEENS4_IJEEENS3_9resources2v13HipEJZN8rajaperf4apps13LTIMES_NOVIEW17runHipVariantImplILm256ELm0EEEvNSG_9VariantIDEEUlllllE_EEENS0_24HipStatementListExecutorISM_NS3_4listIJNS_9statement3ForILl1ENS_6policy3hip11hip_indexerINS_17iteration_mapping6DirectELNS_23kernel_sync_requirementE0EJNS_3hip11IndexGlobalILNS_9named_dimE2ELi2ELi0EEEEEEJNSQ_ILl2ENST_ISV_LSW_0EJNSY_ILSZ_1ELi4ELi0EEEEEEJNSQ_ILl3ENST_ISV_LSW_0EJNSY_ILSZ_0ELi32ELi0EEEEEEJNSQ_ILl0ENSR_10sequential8seq_execEJNSP_6LambdaILl0EJEEEEEEEEEEEEEEEEEENS0_9LoopTypesINSO_IJvvvvEEES1G_EEEEEEvT0_.kd
    .uniform_work_group_size: 1
    .uses_dynamic_stack: false
    .vgpr_count:     15
    .vgpr_spill_count: 0
    .wavefront_size: 64
  - .args:
      - .offset:         0
        .size:           8
        .value_kind:     by_value
      - .offset:         8
        .size:           8
        .value_kind:     by_value
      - .offset:         16
        .size:           8
        .value_kind:     by_value
      - .offset:         24
        .size:           48
        .value_kind:     by_value
    .group_segment_fixed_size: 0
    .kernarg_segment_align: 8
    .kernarg_segment_size: 72
    .language:       OpenCL C
    .language_version:
      - 2
      - 0
    .max_flat_workgroup_size: 256
    .name:           _ZN8rajaperf4apps17ltimes_noview_lamILm32ELm4ELm2EZNS0_13LTIMES_NOVIEW17runHipVariantImplILm256ELm1EEEvNS_9VariantIDEEUllllE_EEvlllT2_
    .private_segment_fixed_size: 0
    .sgpr_count:     24
    .sgpr_spill_count: 0
    .symbol:         _ZN8rajaperf4apps17ltimes_noview_lamILm32ELm4ELm2EZNS0_13LTIMES_NOVIEW17runHipVariantImplILm256ELm1EEEvNS_9VariantIDEEUllllE_EEvlllT2_.kd
    .uniform_work_group_size: 1
    .uses_dynamic_stack: false
    .vgpr_count:     17
    .vgpr_spill_count: 0
    .wavefront_size: 64
  - .args:
      - .offset:         0
        .size:           56
        .value_kind:     by_value
      - .offset:         56
        .size:           1
        .value_kind:     by_value
      - .offset:         64
        .size:           4
        .value_kind:     hidden_block_count_x
      - .offset:         68
        .size:           4
        .value_kind:     hidden_block_count_y
      - .offset:         72
        .size:           4
        .value_kind:     hidden_block_count_z
      - .offset:         76
        .size:           2
        .value_kind:     hidden_group_size_x
      - .offset:         78
        .size:           2
        .value_kind:     hidden_group_size_y
      - .offset:         80
        .size:           2
        .value_kind:     hidden_group_size_z
      - .offset:         82
        .size:           2
        .value_kind:     hidden_remainder_x
      - .offset:         84
        .size:           2
        .value_kind:     hidden_remainder_y
      - .offset:         86
        .size:           2
        .value_kind:     hidden_remainder_z
      - .offset:         104
        .size:           8
        .value_kind:     hidden_global_offset_x
      - .offset:         112
        .size:           8
        .value_kind:     hidden_global_offset_y
      - .offset:         120
        .size:           8
        .value_kind:     hidden_global_offset_z
      - .offset:         128
        .size:           2
        .value_kind:     hidden_grid_dims
    .group_segment_fixed_size: 0
    .kernarg_segment_align: 8
    .kernarg_segment_size: 320
    .language:       OpenCL C
    .language_version:
      - 2
      - 0
    .max_flat_workgroup_size: 256
    .name:           _ZN4RAJA34launch_new_reduce_global_fcn_fixedIZN8rajaperf4apps13LTIMES_NOVIEW17runHipVariantImplILm256ELm1EEEvNS1_9VariantIDEEUlNS_14LaunchContextTINS_3hip33LaunchContextIndicesAndDimsPolicyINS7_14IndicesAndDimsILb0ELb0ELb0ELb0EEEEEEEE_Li256ENS_4expt15ForallParamPackIJEEEEEvT_T1_
    .private_segment_fixed_size: 0
    .sgpr_count:     48
    .sgpr_spill_count: 0
    .symbol:         _ZN4RAJA34launch_new_reduce_global_fcn_fixedIZN8rajaperf4apps13LTIMES_NOVIEW17runHipVariantImplILm256ELm1EEEvNS1_9VariantIDEEUlNS_14LaunchContextTINS_3hip33LaunchContextIndicesAndDimsPolicyINS7_14IndicesAndDimsILb0ELb0ELb0ELb0EEEEEEEE_Li256ENS_4expt15ForallParamPackIJEEEEEvT_T1_.kd
    .uniform_work_group_size: 1
    .uses_dynamic_stack: false
    .vgpr_count:     34
    .vgpr_spill_count: 0
    .wavefront_size: 64
amdhsa.target:   amdgcn-amd-amdhsa--gfx906
amdhsa.version:
  - 1
  - 2
...

	.end_amdgpu_metadata
